;; amdgpu-corpus repo=ROCm/rocBLAS kind=compiled arch=gfx1201 opt=O3
	.amdgcn_target "amdgcn-amd-amdhsa--gfx1201"
	.amdhsa_code_object_version 6
	.section	.text._ZL20rocblas_hbmvn_kernelILi64ELi16EPK19rocblas_complex_numIfES3_PS1_EvbiiT1_T2_lllS6_lllS5_T3_llli,"axG",@progbits,_ZL20rocblas_hbmvn_kernelILi64ELi16EPK19rocblas_complex_numIfES3_PS1_EvbiiT1_T2_lllS6_lllS5_T3_llli,comdat
	.globl	_ZL20rocblas_hbmvn_kernelILi64ELi16EPK19rocblas_complex_numIfES3_PS1_EvbiiT1_T2_lllS6_lllS5_T3_llli ; -- Begin function _ZL20rocblas_hbmvn_kernelILi64ELi16EPK19rocblas_complex_numIfES3_PS1_EvbiiT1_T2_lllS6_lllS5_T3_llli
	.p2align	8
	.type	_ZL20rocblas_hbmvn_kernelILi64ELi16EPK19rocblas_complex_numIfES3_PS1_EvbiiT1_T2_lllS6_lllS5_T3_llli,@function
_ZL20rocblas_hbmvn_kernelILi64ELi16EPK19rocblas_complex_numIfES3_PS1_EvbiiT1_T2_lllS6_lllS5_T3_llli: ; @_ZL20rocblas_hbmvn_kernelILi64ELi16EPK19rocblas_complex_numIfES3_PS1_EvbiiT1_T2_lllS6_lllS5_T3_llli
; %bb.0:
	s_load_b64 s[2:3], s[0:1], 0x94
	s_wait_kmcnt 0x0
	s_lshr_b32 s4, s2, 16
	s_and_b32 s2, s2, 0xffff
	s_and_b32 s3, s3, 0xffff
	s_mul_i32 s4, s4, s2
	s_delay_alu instid0(SALU_CYCLE_1) | instskip(NEXT) | instid1(SALU_CYCLE_1)
	s_mul_i32 s4, s4, s3
	s_cmp_lg_u32 s4, 0x400
	s_cbranch_scc1 .LBB0_51
; %bb.1:
	s_clause 0x1
	s_load_b512 s[4:19], s[0:1], 0x10
	s_load_b256 s[20:27], s[0:1], 0x50
	s_wait_kmcnt 0x0
	s_load_b64 s[34:35], s[4:5], 0x0
	s_load_b64 s[22:23], s[22:23], 0x0
	s_wait_kmcnt 0x0
	s_cmp_neq_f32 s34, 0
	s_cselect_b32 s3, -1, 0
	s_cmp_neq_f32 s35, 0
	s_cselect_b32 s4, -1, 0
	s_delay_alu instid0(SALU_CYCLE_1) | instskip(NEXT) | instid1(SALU_CYCLE_1)
	s_or_b32 s3, s3, s4
	s_and_b32 vcc_lo, exec_lo, s3
	s_mov_b32 s3, -1
	s_cbranch_vccnz .LBB0_3
; %bb.2:
	s_cmp_neq_f32 s22, 1.0
	s_cselect_b32 s3, -1, 0
	s_cmp_neq_f32 s23, 0
	s_cselect_b32 s4, -1, 0
	s_delay_alu instid0(SALU_CYCLE_1)
	s_or_b32 s3, s3, s4
.LBB0_3:
	s_delay_alu instid0(SALU_CYCLE_1)
	s_and_not1_b32 vcc_lo, exec_lo, s3
	s_cbranch_vccnz .LBB0_51
; %bb.4:
	s_load_b32 s33, s[0:1], 0x80
	s_lshr_b32 s40, ttmp7, 16
	s_wait_kmcnt 0x0
	s_cmp_ge_u32 s40, s33
	s_cbranch_scc1 .LBB0_51
; %bb.5:
	s_clause 0x1
	s_load_b96 s[36:38], s[0:1], 0x0
	s_load_b128 s[28:31], s[0:1], 0x70
	v_and_b32_e32 v1, 0x3ff, v0
	v_bfe_u32 v0, v0, 10, 10
	s_lshl_b64 s[8:9], s[8:9], 3
	s_lshl_b64 s[0:1], s[26:27], 3
	s_mov_b32 s41, 0
	s_add_nc_u64 s[24:25], s[24:25], s[0:1]
	v_mad_u32_u24 v9, v0, s2, v1
	s_add_nc_u64 s[26:27], s[6:7], s[8:9]
	s_delay_alu instid0(VALU_DEP_1) | instskip(SKIP_3) | instid1(VALU_DEP_4)
	v_lshrrev_b32_e32 v24, 6, v9
	v_and_b32_e32 v13, 63, v9
	v_lshlrev_b32_e32 v25, 3, v9
	v_cmp_gt_u32_e64 s3, 64, v9
	v_mad_co_u64_u32 v[2:3], null, s18, v24, 0
	s_wait_kmcnt 0x0
	s_bitcmp1_b32 s36, 0
	v_mad_co_u64_u32 v[4:5], null, s10, v24, 0
	s_cselect_b32 s0, -1, 0
	s_delay_alu instid0(SALU_CYCLE_1)
	s_and_b32 s1, s0, exec_lo
	s_cselect_b32 s5, s38, 0
	s_or_b32 s1, s34, s35
	s_xor_b32 s36, s0, -1
	s_bitset0_b32 s1, 31
	v_mov_b32_e32 v0, v3
	s_cmp_lg_u32 s1, 0
	s_cselect_b32 s39, -1, 0
	s_cmp_eq_u32 s1, 0
	s_delay_alu instid0(VALU_DEP_1)
	v_mad_co_u64_u32 v[6:7], null, s19, v24, v[0:1]
	s_cselect_b32 s42, -1, 0
	s_lshl_b32 s44, ttmp9, 6
	s_cmp_eq_u32 s38, 0
	v_or_b32_e32 v0, s44, v13
	s_cselect_b32 s2, -1, 0
	v_dual_mov_b32 v3, v6 :: v_dual_add_nc_u32 v10, s44, v9
	s_wait_alu 0xfffe
	s_or_b32 s43, s36, s2
	v_ashrrev_i32_e32 v1, 31, v0
	s_cmp_neq_f32 s22, 0
	v_mul_lo_u32 v6, s11, v0
	v_mad_co_u64_u32 v[7:8], null, s10, v0, 0
	s_delay_alu instid0(VALU_DEP_3)
	v_mul_lo_u32 v14, s10, v1
	s_cselect_b32 s45, -1, 0
	s_cmp_neq_f32 s23, 0
	v_lshlrev_b64_e32 v[2:3], 3, v[2:3]
	v_ashrrev_i32_e32 v15, 31, v10
	v_mul_lo_u32 v16, s29, v10
	s_cselect_b32 s46, -1, 0
	s_lshl_b64 s[16:17], s[16:17], 3
	v_add3_u32 v8, v8, v14, v6
	s_add_nc_u64 s[14:15], s[14:15], s[16:17]
	v_mad_co_u64_u32 v[11:12], null, s28, v10, 0
	v_add_co_u32 v14, vcc_lo, s14, v2
	v_lshlrev_b64_e32 v[1:2], 3, v[0:1]
	v_add_co_ci_u32_e64 v3, null, s15, v3, vcc_lo
	s_lshl_b64 s[14:15], s[10:11], 3
	v_mul_lo_u32 v15, s28, v15
	s_wait_alu 0xfffe
	s_add_nc_u64 s[28:29], s[14:15], -8
	v_mad_co_u64_u32 v[5:6], null, s11, v24, v[5:6]
	v_cmp_gt_i32_e64 s4, s37, v10
	s_wait_alu 0xfffe
	v_mad_co_u64_u32 v[9:10], null, v24, s28, v[1:2]
	v_add_co_u32 v1, vcc_lo, v14, 4
	s_wait_alu 0xfffd
	v_add_co_ci_u32_e64 v2, null, 0, v3, vcc_lo
	v_lshlrev_b64_e32 v[4:5], 3, v[4:5]
	v_add3_u32 v12, v12, v15, v16
	v_dual_mov_b32 v3, v10 :: v_dual_mov_b32 v10, 0
	v_sub_nc_u32_e32 v6, s5, v13
	v_lshlrev_b64_e32 v[7:8], 3, v[7:8]
	s_delay_alu instid0(VALU_DEP_4)
	v_lshlrev_b64_e32 v[11:12], 3, v[11:12]
	v_cmp_gt_i32_e64 s1, s37, v24
	v_cmp_gt_i32_e64 s2, s37, v0
	v_subrev_nc_u32_e32 v26, s44, v6
	v_add3_u32 v6, s38, s44, v13
	v_mad_co_u64_u32 v[13:14], null, v24, s29, v[3:4]
	v_add_co_u32 v3, vcc_lo, s6, v4
	s_wait_alu 0xfffd
	v_add_co_ci_u32_e64 v4, null, s7, v5, vcc_lo
	v_add_co_u32 v5, vcc_lo, s6, v9
	s_lshl_b64 s[16:17], s[18:19], 7
	v_sub_nc_u32_e32 v27, v6, v24
	s_wait_alu 0xfffd
	v_add_co_ci_u32_e64 v6, null, s7, v13, vcc_lo
	v_sub_nc_u32_e32 v28, v0, v24
	s_movk_i32 s18, 0xff80
	s_lshl_b64 s[10:11], s[10:11], 7
	s_mov_b32 s19, -1
	s_lshl_b64 s[14:15], s[20:21], 3
	s_or_b32 s28, s45, s46
	s_lshl_b64 s[6:7], s[12:13], 3
	s_wait_alu 0xfffe
	s_add_nc_u64 s[18:19], s[10:11], s[18:19]
	s_branch .LBB0_8
.LBB0_6:                                ;   in Loop: Header=BB0_8 Depth=1
	v_add_co_u32 v15, vcc_lo, s20, v11
	s_wait_alu 0xfffd
	v_add_co_ci_u32_e64 v16, null, s21, v12, vcc_lo
	global_store_b64 v[15:16], v[13:14], off
.LBB0_7:                                ;   in Loop: Header=BB0_8 Depth=1
	s_wait_alu 0xfffe
	s_or_b32 exec_lo, exec_lo, s5
	s_add_co_i32 s40, s40, 0x10000
	s_wait_alu 0xfffe
	s_cmp_lt_u32 s40, s33
	s_cbranch_scc0 .LBB0_51
.LBB0_8:                                ; =>This Loop Header: Depth=1
                                        ;     Child Loop BB0_14 Depth 2
	s_and_not1_b32 vcc_lo, exec_lo, s39
	s_wait_alu 0xfffe
	s_cbranch_vccnz .LBB0_40
; %bb.9:                                ;   in Loop: Header=BB0_8 Depth=1
	v_dual_mov_b32 v20, 0 :: v_dual_mov_b32 v19, 0
	s_and_saveexec_b32 s20, s1
	s_cbranch_execz .LBB0_39
; %bb.10:                               ;   in Loop: Header=BB0_8 Depth=1
	v_mad_co_u64_u32 v[13:14], null, s14, s40, v[1:2]
	v_mad_co_u64_u32 v[15:16], null, s6, s40, v[3:4]
	;; [unrolled: 1-line block ×3, first 2 shown]
	s_mul_u64 s[44:45], s[12:13], s[40:41]
	s_mul_i32 s5, s7, s40
	v_dual_mov_b32 v9, v14 :: v_dual_mov_b32 v20, 0
	s_wait_alu 0xfffe
	s_lshl_b64 s[44:45], s[44:45], 3
	v_dual_mov_b32 v29, v28 :: v_dual_add_nc_u32 v16, s5, v16
	s_delay_alu instid0(VALU_DEP_2)
	v_mad_co_u64_u32 v[21:22], null, s15, s40, v[9:10]
	s_wait_alu 0xfffe
	s_add_nc_u64 s[44:45], s[26:27], s[44:45]
	v_add_nc_u32_e32 v18, s5, v18
	s_wait_alu 0xfffe
	v_add_co_u32 v30, vcc_lo, s44, v7
	s_wait_alu 0xfffd
	v_add_co_ci_u32_e64 v31, null, s45, v8, vcc_lo
	v_dual_mov_b32 v14, v21 :: v_dual_mov_b32 v19, 0
	v_dual_mov_b32 v21, v27 :: v_dual_mov_b32 v32, v24
	s_mov_b32 s21, 0
	s_branch .LBB0_14
.LBB0_11:                               ;   in Loop: Header=BB0_14 Depth=2
	s_wait_alu 0xfffe
	s_or_b32 exec_lo, exec_lo, s5
.LBB0_12:                               ;   in Loop: Header=BB0_14 Depth=2
	s_wait_alu 0xfffe
	s_or_b32 exec_lo, exec_lo, s44
.LBB0_13:                               ;   in Loop: Header=BB0_14 Depth=2
	s_wait_alu 0xfffe
	s_or_b32 exec_lo, exec_lo, s29
	v_add_nc_u32_e32 v32, 16, v32
	v_add_co_u32 v13, vcc_lo, v13, s16
	s_wait_alu 0xfffd
	v_add_co_ci_u32_e64 v14, null, s17, v14, vcc_lo
	v_add_co_u32 v15, vcc_lo, v15, s10
	s_wait_alu 0xfffd
	v_add_co_ci_u32_e64 v16, null, s11, v16, vcc_lo
	v_cmp_le_i32_e32 vcc_lo, s37, v32
	v_add_co_u32 v17, s5, v17, s18
	v_add_nc_u32_e32 v21, -16, v21
	s_wait_alu 0xf1ff
	v_add_co_ci_u32_e64 v18, null, s19, v18, s5
	v_add_nc_u32_e32 v29, -16, v29
	s_or_b32 s21, vcc_lo, s21
	s_wait_alu 0xfffe
	s_and_not1_b32 exec_lo, exec_lo, s21
	s_cbranch_execz .LBB0_38
.LBB0_14:                               ;   Parent Loop BB0_8 Depth=1
                                        ; =>  This Inner Loop Header: Depth=2
	s_and_saveexec_b32 s29, s2
	s_cbranch_execz .LBB0_13
; %bb.15:                               ;   in Loop: Header=BB0_14 Depth=2
	v_cmp_gt_i32_e32 vcc_lo, v0, v32
	s_wait_alu 0xfffd
	v_cndmask_b32_e64 v9, 0, 1, vcc_lo
	v_cmp_lt_i32_e32 vcc_lo, v0, v32
	s_wait_alu 0xfffd
	v_cndmask_b32_e64 v22, 0, 1, vcc_lo
	s_delay_alu instid0(VALU_DEP_1) | instskip(NEXT) | instid1(VALU_DEP_1)
	v_cndmask_b32_e64 v9, v22, v9, s0
	v_and_b32_e32 v9, 1, v9
	s_delay_alu instid0(VALU_DEP_1)
	v_cmp_eq_u32_e32 vcc_lo, 1, v9
	s_xor_b32 s5, vcc_lo, -1
	s_wait_alu 0xfffe
	s_and_saveexec_b32 s44, s5
	s_wait_alu 0xfffe
	s_xor_b32 s44, exec_lo, s44
	s_cbranch_execz .LBB0_35
; %bb.16:                               ;   in Loop: Header=BB0_14 Depth=2
	v_add_nc_u32_e32 v9, s38, v29
	s_delay_alu instid0(VALU_DEP_1) | instskip(NEXT) | instid1(VALU_DEP_1)
	v_cndmask_b32_e64 v9, v29, v9, s0
	v_cmp_le_i32_e32 vcc_lo, s38, v9
	v_cmp_gt_i32_e64 s5, 1, v9
	s_or_b32 s5, vcc_lo, s5
	s_wait_alu 0xfffe
	s_and_saveexec_b32 s45, s5
	s_wait_alu 0xfffe
	s_xor_b32 s5, exec_lo, s45
	s_cbranch_execz .LBB0_32
; %bb.17:                               ;   in Loop: Header=BB0_14 Depth=2
	s_mov_b32 s45, exec_lo
	v_cmpx_ne_u32_e32 0, v9
	s_wait_alu 0xfffe
	s_xor_b32 s45, exec_lo, s45
	s_cbranch_execz .LBB0_25
; %bb.18:                               ;   in Loop: Header=BB0_14 Depth=2
	s_mov_b32 s46, exec_lo
	v_cmpx_eq_u32_e64 s38, v9
	s_cbranch_execz .LBB0_24
; %bb.19:                               ;   in Loop: Header=BB0_14 Depth=2
	s_and_b32 vcc_lo, exec_lo, s36
	s_mov_b32 s47, -1
                                        ; implicit-def: $vgpr9
                                        ; implicit-def: $vgpr22
	s_wait_alu 0xfffe
	s_cbranch_vccz .LBB0_21
; %bb.20:                               ;   in Loop: Header=BB0_14 Depth=2
	v_add_co_u32 v22, vcc_lo, v17, s8
	s_wait_alu 0xfffd
	v_add_co_ci_u32_e64 v23, null, s9, v18, vcc_lo
	s_mov_b32 s47, 0
	global_load_b64 v[33:34], v[13:14], off offset:-4
	global_load_b64 v[22:23], v[22:23], off
	s_wait_loadcnt 0x0
	v_mul_f32_e32 v9, v34, v23
	s_delay_alu instid0(VALU_DEP_1) | instskip(SKIP_1) | instid1(VALU_DEP_1)
	v_fma_f32 v9, v33, v22, -v9
	v_mul_f32_e32 v23, v33, v23
	v_dual_fmac_f32 v23, v34, v22 :: v_dual_add_f32 v22, v19, v9
	s_delay_alu instid0(VALU_DEP_1)
	v_add_f32_e32 v9, v20, v23
.LBB0_21:                               ;   in Loop: Header=BB0_14 Depth=2
	s_and_not1_b32 vcc_lo, exec_lo, s47
	s_wait_alu 0xfffe
	s_cbranch_vccnz .LBB0_23
; %bb.22:                               ;   in Loop: Header=BB0_14 Depth=2
	v_ashrrev_i32_e32 v22, 31, v21
	s_delay_alu instid0(VALU_DEP_1) | instskip(NEXT) | instid1(VALU_DEP_1)
	v_lshlrev_b64_e32 v[22:23], 3, v[21:22]
	v_add_co_u32 v9, vcc_lo, v15, v22
	s_wait_alu 0xfffd
	s_delay_alu instid0(VALU_DEP_2) | instskip(NEXT) | instid1(VALU_DEP_2)
	v_add_co_ci_u32_e64 v23, null, v16, v23, vcc_lo
	v_add_co_u32 v22, vcc_lo, v9, s8
	s_wait_alu 0xfffd
	s_delay_alu instid0(VALU_DEP_2)
	v_add_co_ci_u32_e64 v23, null, s9, v23, vcc_lo
	global_load_b64 v[33:34], v[13:14], off offset:-4
	global_load_b32 v9, v[22:23], off
	s_wait_loadcnt 0x0
	v_fmac_f32_e32 v20, v9, v34
	v_fmac_f32_e32 v19, v9, v33
	s_delay_alu instid0(VALU_DEP_1)
	v_dual_mov_b32 v9, v20 :: v_dual_mov_b32 v22, v19
.LBB0_23:                               ;   in Loop: Header=BB0_14 Depth=2
	s_delay_alu instid0(VALU_DEP_1)
	v_dual_mov_b32 v20, v9 :: v_dual_mov_b32 v19, v22
.LBB0_24:                               ;   in Loop: Header=BB0_14 Depth=2
	s_or_b32 exec_lo, exec_lo, s46
.LBB0_25:                               ;   in Loop: Header=BB0_14 Depth=2
	s_wait_alu 0xfffe
	s_and_not1_saveexec_b32 s45, s45
	s_cbranch_execz .LBB0_31
; %bb.26:                               ;   in Loop: Header=BB0_14 Depth=2
	v_add_co_u32 v22, vcc_lo, v15, s8
	s_wait_alu 0xfffd
	v_add_co_ci_u32_e64 v23, null, s9, v16, vcc_lo
	s_and_not1_b32 vcc_lo, exec_lo, s43
	s_mov_b32 s46, -1
                                        ; implicit-def: $vgpr33
                                        ; implicit-def: $vgpr9
	s_wait_alu 0xfffe
	s_cbranch_vccnz .LBB0_28
; %bb.27:                               ;   in Loop: Header=BB0_14 Depth=2
	global_load_b32 v35, v[22:23], off
	global_load_b64 v[33:34], v[13:14], off offset:-4
	s_mov_b32 s46, 0
	s_wait_loadcnt 0x0
	v_fma_f32 v9, v35, v33, v19
	v_fma_f32 v33, v35, v34, v20
.LBB0_28:                               ;   in Loop: Header=BB0_14 Depth=2
	s_and_not1_b32 vcc_lo, exec_lo, s46
	s_wait_alu 0xfffe
	s_cbranch_vccnz .LBB0_30
; %bb.29:                               ;   in Loop: Header=BB0_14 Depth=2
	global_load_b64 v[22:23], v[22:23], off
	global_load_b64 v[33:34], v[13:14], off offset:-4
	s_wait_loadcnt 0x0
	v_mul_f32_e32 v9, v34, v23
	v_mul_f32_e32 v23, v33, v23
	s_delay_alu instid0(VALU_DEP_2) | instskip(NEXT) | instid1(VALU_DEP_2)
	v_fma_f32 v9, v33, v22, -v9
	v_fmac_f32_e32 v23, v34, v22
	s_delay_alu instid0(VALU_DEP_2) | instskip(NEXT) | instid1(VALU_DEP_2)
	v_add_f32_e32 v9, v19, v9
	v_add_f32_e32 v33, v20, v23
.LBB0_30:                               ;   in Loop: Header=BB0_14 Depth=2
	s_delay_alu instid0(VALU_DEP_1)
	v_dual_mov_b32 v20, v33 :: v_dual_mov_b32 v19, v9
.LBB0_31:                               ;   in Loop: Header=BB0_14 Depth=2
	s_wait_alu 0xfffe
	s_or_b32 exec_lo, exec_lo, s45
.LBB0_32:                               ;   in Loop: Header=BB0_14 Depth=2
	s_wait_alu 0xfffe
	s_and_not1_saveexec_b32 s5, s5
	s_cbranch_execz .LBB0_34
; %bb.33:                               ;   in Loop: Header=BB0_14 Depth=2
	v_lshlrev_b64_e32 v[22:23], 3, v[9:10]
	v_add_co_u32 v9, vcc_lo, v15, s8
	s_wait_alu 0xfffd
	v_add_co_ci_u32_e64 v33, null, s9, v16, vcc_lo
	s_delay_alu instid0(VALU_DEP_2) | instskip(SKIP_1) | instid1(VALU_DEP_2)
	v_add_co_u32 v22, vcc_lo, v9, v22
	s_wait_alu 0xfffd
	v_add_co_ci_u32_e64 v23, null, v33, v23, vcc_lo
	global_load_b64 v[33:34], v[13:14], off offset:-4
	global_load_b64 v[22:23], v[22:23], off
	s_wait_loadcnt 0x0
	v_mul_f32_e32 v9, v34, v23
	v_mul_f32_e32 v23, v33, v23
	s_delay_alu instid0(VALU_DEP_2) | instskip(NEXT) | instid1(VALU_DEP_2)
	v_fma_f32 v9, v33, v22, -v9
	v_fmac_f32_e32 v23, v34, v22
	s_delay_alu instid0(VALU_DEP_1)
	v_dual_add_f32 v19, v19, v9 :: v_dual_add_f32 v20, v20, v23
.LBB0_34:                               ;   in Loop: Header=BB0_14 Depth=2
	s_wait_alu 0xfffe
	s_or_b32 exec_lo, exec_lo, s5
.LBB0_35:                               ;   in Loop: Header=BB0_14 Depth=2
	s_wait_alu 0xfffe
	s_and_not1_saveexec_b32 s44, s44
	s_cbranch_execz .LBB0_12
; %bb.36:                               ;   in Loop: Header=BB0_14 Depth=2
	v_add_nc_u32_e32 v9, v26, v32
	s_delay_alu instid0(VALU_DEP_1)
	v_cmp_ge_i32_e32 vcc_lo, s38, v9
	v_cmp_lt_i32_e64 s5, -1, v9
	s_and_b32 s45, vcc_lo, s5
	s_wait_alu 0xfffe
	s_and_saveexec_b32 s5, s45
	s_cbranch_execz .LBB0_11
; %bb.37:                               ;   in Loop: Header=BB0_14 Depth=2
	v_lshlrev_b64_e32 v[22:23], 3, v[9:10]
	s_delay_alu instid0(VALU_DEP_1) | instskip(SKIP_1) | instid1(VALU_DEP_2)
	v_add_co_u32 v22, vcc_lo, v30, v22
	s_wait_alu 0xfffd
	v_add_co_ci_u32_e64 v23, null, v31, v23, vcc_lo
	global_load_b64 v[33:34], v[13:14], off offset:-4
	global_load_b64 v[22:23], v[22:23], off
	s_wait_loadcnt 0x0
	v_mul_f32_e32 v9, v23, v34
	v_mul_f32_e32 v23, v23, v33
	s_delay_alu instid0(VALU_DEP_2) | instskip(NEXT) | instid1(VALU_DEP_2)
	v_fmac_f32_e32 v9, v22, v33
	v_fma_f32 v22, v22, v34, -v23
	s_delay_alu instid0(VALU_DEP_1)
	v_dual_add_f32 v19, v19, v9 :: v_dual_add_f32 v20, v20, v22
	s_branch .LBB0_11
.LBB0_38:                               ;   in Loop: Header=BB0_8 Depth=1
	s_or_b32 exec_lo, exec_lo, s21
.LBB0_39:                               ;   in Loop: Header=BB0_8 Depth=1
	s_wait_alu 0xfffe
	s_or_b32 exec_lo, exec_lo, s20
	ds_store_b64 v25, v[19:20]
	s_wait_dscnt 0x0
	s_barrier_signal -1
	s_barrier_wait -1
	global_inv scope:SCOPE_SE
.LBB0_40:                               ;   in Loop: Header=BB0_8 Depth=1
	s_and_saveexec_b32 s5, s3
	s_cbranch_execz .LBB0_7
; %bb.41:                               ;   in Loop: Header=BB0_8 Depth=1
	s_mul_u64 s[20:21], s[30:31], s[40:41]
	s_mov_b32 s29, -1
	s_wait_alu 0xfffe
	s_lshl_b64 s[20:21], s[20:21], 3
	s_and_b32 vcc_lo, exec_lo, s42
	s_wait_alu 0xfffe
	s_add_nc_u64 s[20:21], s[24:25], s[20:21]
	s_cbranch_vccz .LBB0_47
; %bb.42:                               ;   in Loop: Header=BB0_8 Depth=1
	s_and_saveexec_b32 s29, s4
	s_cbranch_execz .LBB0_46
; %bb.43:                               ;   in Loop: Header=BB0_8 Depth=1
	v_dual_mov_b32 v14, 0 :: v_dual_mov_b32 v13, 0
	s_and_not1_b32 vcc_lo, exec_lo, s28
	s_wait_alu 0xfffe
	s_cbranch_vccnz .LBB0_45
; %bb.44:                               ;   in Loop: Header=BB0_8 Depth=1
	v_add_co_u32 v13, vcc_lo, s20, v11
	s_wait_alu 0xfffd
	v_add_co_ci_u32_e64 v14, null, s21, v12, vcc_lo
	global_load_b64 v[15:16], v[13:14], off
	s_wait_loadcnt 0x0
	v_mul_f32_e32 v14, s22, v16
	s_delay_alu instid0(VALU_DEP_1) | instskip(NEXT) | instid1(VALU_DEP_1)
	v_dual_mul_f32 v9, s23, v16 :: v_dual_fmac_f32 v14, s23, v15
	v_fma_f32 v13, s22, v15, -v9
.LBB0_45:                               ;   in Loop: Header=BB0_8 Depth=1
	v_add_co_u32 v15, vcc_lo, s20, v11
	s_wait_alu 0xfffd
	v_add_co_ci_u32_e64 v16, null, s21, v12, vcc_lo
	global_store_b64 v[15:16], v[13:14], off
.LBB0_46:                               ;   in Loop: Header=BB0_8 Depth=1
	s_wait_alu 0xfffe
	s_or_b32 exec_lo, exec_lo, s29
	s_mov_b32 s29, 0
.LBB0_47:                               ;   in Loop: Header=BB0_8 Depth=1
	s_wait_alu 0xfffe
	s_and_not1_b32 vcc_lo, exec_lo, s29
	s_wait_alu 0xfffe
	s_cbranch_vccnz .LBB0_7
; %bb.48:                               ;   in Loop: Header=BB0_8 Depth=1
	ds_load_2addr_stride64_b64 v[13:16], v25 offset1:1
	ds_load_2addr_stride64_b64 v[17:20], v25 offset0:2 offset1:3
	ds_load_2addr_stride64_b64 v[29:32], v25 offset0:4 offset1:5
	s_wait_dscnt 0x2
	v_add_f32_e32 v9, v13, v15
	v_add_f32_e32 v21, v14, v16
	ds_load_2addr_stride64_b64 v[13:16], v25 offset0:6 offset1:7
	s_wait_dscnt 0x2
	v_add_f32_e32 v9, v9, v17
	v_add_f32_e32 v17, v21, v18
	s_delay_alu instid0(VALU_DEP_2) | instskip(NEXT) | instid1(VALU_DEP_2)
	v_add_f32_e32 v9, v9, v19
	v_add_f32_e32 v21, v17, v20
	ds_load_2addr_stride64_b64 v[17:20], v25 offset0:8 offset1:9
	s_wait_dscnt 0x2
	v_add_f32_e32 v9, v9, v29
	v_add_f32_e32 v21, v21, v30
	s_delay_alu instid0(VALU_DEP_2) | instskip(NEXT) | instid1(VALU_DEP_2)
	;; [unrolled: 7-line block ×5, first 2 shown]
	v_add_f32_e32 v9, v9, v31
	v_add_f32_e32 v21, v21, v32
	s_wait_dscnt 0x1
	s_delay_alu instid0(VALU_DEP_2) | instskip(NEXT) | instid1(VALU_DEP_2)
	v_add_f32_e32 v9, v9, v13
	v_add_f32_e32 v13, v21, v14
	s_delay_alu instid0(VALU_DEP_2) | instskip(NEXT) | instid1(VALU_DEP_2)
	v_add_f32_e32 v9, v9, v15
	v_add_f32_e32 v13, v13, v16
	s_wait_dscnt 0x0
	s_delay_alu instid0(VALU_DEP_2) | instskip(NEXT) | instid1(VALU_DEP_2)
	v_add_f32_e32 v9, v9, v17
	v_add_f32_e32 v13, v13, v18
	s_delay_alu instid0(VALU_DEP_2) | instskip(NEXT) | instid1(VALU_DEP_2)
	v_add_f32_e32 v15, v9, v19
	v_add_f32_e32 v16, v13, v20
	ds_store_b64 v25, v[15:16]
	s_and_b32 exec_lo, exec_lo, s4
	s_cbranch_execz .LBB0_7
; %bb.49:                               ;   in Loop: Header=BB0_8 Depth=1
	v_mul_f32_e32 v14, s34, v16
	v_mul_f32_e32 v9, s35, v16
	s_and_not1_b32 vcc_lo, exec_lo, s28
	s_delay_alu instid0(VALU_DEP_2) | instskip(NEXT) | instid1(VALU_DEP_2)
	v_fmac_f32_e32 v14, s35, v15
	v_fma_f32 v13, v15, s34, -v9
	s_wait_alu 0xfffe
	s_cbranch_vccnz .LBB0_6
; %bb.50:                               ;   in Loop: Header=BB0_8 Depth=1
	v_add_co_u32 v15, vcc_lo, s20, v11
	s_wait_alu 0xfffd
	v_add_co_ci_u32_e64 v16, null, s21, v12, vcc_lo
	global_load_b64 v[15:16], v[15:16], off
	s_wait_loadcnt 0x0
	v_mul_f32_e32 v9, s23, v16
	v_mul_f32_e32 v16, s22, v16
	s_delay_alu instid0(VALU_DEP_1) | instskip(NEXT) | instid1(VALU_DEP_3)
	v_fmac_f32_e32 v16, s23, v15
	v_fma_f32 v9, s22, v15, -v9
	s_delay_alu instid0(VALU_DEP_1)
	v_dual_add_f32 v14, v14, v16 :: v_dual_add_f32 v13, v13, v9
	s_branch .LBB0_6
.LBB0_51:
	s_endpgm
	.section	.rodata,"a",@progbits
	.p2align	6, 0x0
	.amdhsa_kernel _ZL20rocblas_hbmvn_kernelILi64ELi16EPK19rocblas_complex_numIfES3_PS1_EvbiiT1_T2_lllS6_lllS5_T3_llli
		.amdhsa_group_segment_fixed_size 8192
		.amdhsa_private_segment_fixed_size 0
		.amdhsa_kernarg_size 392
		.amdhsa_user_sgpr_count 2
		.amdhsa_user_sgpr_dispatch_ptr 0
		.amdhsa_user_sgpr_queue_ptr 0
		.amdhsa_user_sgpr_kernarg_segment_ptr 1
		.amdhsa_user_sgpr_dispatch_id 0
		.amdhsa_user_sgpr_private_segment_size 0
		.amdhsa_wavefront_size32 1
		.amdhsa_uses_dynamic_stack 0
		.amdhsa_enable_private_segment 0
		.amdhsa_system_sgpr_workgroup_id_x 1
		.amdhsa_system_sgpr_workgroup_id_y 0
		.amdhsa_system_sgpr_workgroup_id_z 1
		.amdhsa_system_sgpr_workgroup_info 0
		.amdhsa_system_vgpr_workitem_id 1
		.amdhsa_next_free_vgpr 36
		.amdhsa_next_free_sgpr 48
		.amdhsa_reserve_vcc 1
		.amdhsa_float_round_mode_32 0
		.amdhsa_float_round_mode_16_64 0
		.amdhsa_float_denorm_mode_32 3
		.amdhsa_float_denorm_mode_16_64 3
		.amdhsa_fp16_overflow 0
		.amdhsa_workgroup_processor_mode 1
		.amdhsa_memory_ordered 1
		.amdhsa_forward_progress 1
		.amdhsa_inst_pref_size 21
		.amdhsa_round_robin_scheduling 0
		.amdhsa_exception_fp_ieee_invalid_op 0
		.amdhsa_exception_fp_denorm_src 0
		.amdhsa_exception_fp_ieee_div_zero 0
		.amdhsa_exception_fp_ieee_overflow 0
		.amdhsa_exception_fp_ieee_underflow 0
		.amdhsa_exception_fp_ieee_inexact 0
		.amdhsa_exception_int_div_zero 0
	.end_amdhsa_kernel
	.section	.text._ZL20rocblas_hbmvn_kernelILi64ELi16EPK19rocblas_complex_numIfES3_PS1_EvbiiT1_T2_lllS6_lllS5_T3_llli,"axG",@progbits,_ZL20rocblas_hbmvn_kernelILi64ELi16EPK19rocblas_complex_numIfES3_PS1_EvbiiT1_T2_lllS6_lllS5_T3_llli,comdat
.Lfunc_end0:
	.size	_ZL20rocblas_hbmvn_kernelILi64ELi16EPK19rocblas_complex_numIfES3_PS1_EvbiiT1_T2_lllS6_lllS5_T3_llli, .Lfunc_end0-_ZL20rocblas_hbmvn_kernelILi64ELi16EPK19rocblas_complex_numIfES3_PS1_EvbiiT1_T2_lllS6_lllS5_T3_llli
                                        ; -- End function
	.set _ZL20rocblas_hbmvn_kernelILi64ELi16EPK19rocblas_complex_numIfES3_PS1_EvbiiT1_T2_lllS6_lllS5_T3_llli.num_vgpr, 36
	.set _ZL20rocblas_hbmvn_kernelILi64ELi16EPK19rocblas_complex_numIfES3_PS1_EvbiiT1_T2_lllS6_lllS5_T3_llli.num_agpr, 0
	.set _ZL20rocblas_hbmvn_kernelILi64ELi16EPK19rocblas_complex_numIfES3_PS1_EvbiiT1_T2_lllS6_lllS5_T3_llli.numbered_sgpr, 48
	.set _ZL20rocblas_hbmvn_kernelILi64ELi16EPK19rocblas_complex_numIfES3_PS1_EvbiiT1_T2_lllS6_lllS5_T3_llli.num_named_barrier, 0
	.set _ZL20rocblas_hbmvn_kernelILi64ELi16EPK19rocblas_complex_numIfES3_PS1_EvbiiT1_T2_lllS6_lllS5_T3_llli.private_seg_size, 0
	.set _ZL20rocblas_hbmvn_kernelILi64ELi16EPK19rocblas_complex_numIfES3_PS1_EvbiiT1_T2_lllS6_lllS5_T3_llli.uses_vcc, 1
	.set _ZL20rocblas_hbmvn_kernelILi64ELi16EPK19rocblas_complex_numIfES3_PS1_EvbiiT1_T2_lllS6_lllS5_T3_llli.uses_flat_scratch, 0
	.set _ZL20rocblas_hbmvn_kernelILi64ELi16EPK19rocblas_complex_numIfES3_PS1_EvbiiT1_T2_lllS6_lllS5_T3_llli.has_dyn_sized_stack, 0
	.set _ZL20rocblas_hbmvn_kernelILi64ELi16EPK19rocblas_complex_numIfES3_PS1_EvbiiT1_T2_lllS6_lllS5_T3_llli.has_recursion, 0
	.set _ZL20rocblas_hbmvn_kernelILi64ELi16EPK19rocblas_complex_numIfES3_PS1_EvbiiT1_T2_lllS6_lllS5_T3_llli.has_indirect_call, 0
	.section	.AMDGPU.csdata,"",@progbits
; Kernel info:
; codeLenInByte = 2568
; TotalNumSgprs: 50
; NumVgprs: 36
; ScratchSize: 0
; MemoryBound: 0
; FloatMode: 240
; IeeeMode: 1
; LDSByteSize: 8192 bytes/workgroup (compile time only)
; SGPRBlocks: 0
; VGPRBlocks: 4
; NumSGPRsForWavesPerEU: 50
; NumVGPRsForWavesPerEU: 36
; Occupancy: 16
; WaveLimiterHint : 0
; COMPUTE_PGM_RSRC2:SCRATCH_EN: 0
; COMPUTE_PGM_RSRC2:USER_SGPR: 2
; COMPUTE_PGM_RSRC2:TRAP_HANDLER: 0
; COMPUTE_PGM_RSRC2:TGID_X_EN: 1
; COMPUTE_PGM_RSRC2:TGID_Y_EN: 0
; COMPUTE_PGM_RSRC2:TGID_Z_EN: 1
; COMPUTE_PGM_RSRC2:TIDIG_COMP_CNT: 1
	.section	.text._ZL20rocblas_hbmvn_kernelILi64ELi16E19rocblas_complex_numIfEPKS1_PS1_EvbiiT1_T2_lllS6_lllS5_T3_llli,"axG",@progbits,_ZL20rocblas_hbmvn_kernelILi64ELi16E19rocblas_complex_numIfEPKS1_PS1_EvbiiT1_T2_lllS6_lllS5_T3_llli,comdat
	.globl	_ZL20rocblas_hbmvn_kernelILi64ELi16E19rocblas_complex_numIfEPKS1_PS1_EvbiiT1_T2_lllS6_lllS5_T3_llli ; -- Begin function _ZL20rocblas_hbmvn_kernelILi64ELi16E19rocblas_complex_numIfEPKS1_PS1_EvbiiT1_T2_lllS6_lllS5_T3_llli
	.p2align	8
	.type	_ZL20rocblas_hbmvn_kernelILi64ELi16E19rocblas_complex_numIfEPKS1_PS1_EvbiiT1_T2_lllS6_lllS5_T3_llli,@function
_ZL20rocblas_hbmvn_kernelILi64ELi16E19rocblas_complex_numIfEPKS1_PS1_EvbiiT1_T2_lllS6_lllS5_T3_llli: ; @_ZL20rocblas_hbmvn_kernelILi64ELi16E19rocblas_complex_numIfEPKS1_PS1_EvbiiT1_T2_lllS6_lllS5_T3_llli
; %bb.0:
	s_load_b64 s[2:3], s[0:1], 0x94
	s_wait_kmcnt 0x0
	s_lshr_b32 s4, s2, 16
	s_and_b32 s2, s2, 0xffff
	s_and_b32 s3, s3, 0xffff
	s_mul_i32 s4, s4, s2
	s_delay_alu instid0(SALU_CYCLE_1) | instskip(NEXT) | instid1(SALU_CYCLE_1)
	s_mul_i32 s4, s4, s3
	s_cmp_lg_u32 s4, 0x400
	s_cbranch_scc1 .LBB1_51
; %bb.1:
	s_clause 0x2
	s_load_b128 s[36:39], s[0:1], 0x0
	s_load_b32 s33, s[0:1], 0x10
	s_load_b64 s[6:7], s[0:1], 0x58
	s_wait_kmcnt 0x0
	s_cmp_neq_f32 s39, 0
	s_cselect_b32 s3, -1, 0
	s_cmp_neq_f32 s33, 0
	s_cselect_b32 s4, -1, 0
	s_delay_alu instid0(SALU_CYCLE_1) | instskip(NEXT) | instid1(SALU_CYCLE_1)
	s_or_b32 s3, s3, s4
	s_and_b32 vcc_lo, exec_lo, s3
	s_mov_b32 s3, -1
	s_cbranch_vccnz .LBB1_3
; %bb.2:
	s_cmp_neq_f32 s6, 1.0
	s_cselect_b32 s3, -1, 0
	s_cmp_neq_f32 s7, 0
	s_cselect_b32 s4, -1, 0
	s_delay_alu instid0(SALU_CYCLE_1)
	s_or_b32 s3, s3, s4
.LBB1_3:
	s_delay_alu instid0(SALU_CYCLE_1)
	s_and_not1_b32 vcc_lo, exec_lo, s3
	s_cbranch_vccnz .LBB1_51
; %bb.4:
	s_load_b32 s40, s[0:1], 0x80
	s_lshr_b32 s34, ttmp7, 16
	s_wait_kmcnt 0x0
	s_cmp_ge_u32 s34, s40
	s_cbranch_scc1 .LBB1_51
; %bb.5:
	s_clause 0x1
	s_load_b512 s[8:23], s[0:1], 0x18
	s_load_b256 s[24:31], s[0:1], 0x60
	v_and_b32_e32 v1, 0x3ff, v0
	v_bfe_u32 v0, v0, 10, 10
	s_mov_b32 s35, 0
	s_delay_alu instid0(VALU_DEP_1) | instskip(NEXT) | instid1(VALU_DEP_1)
	v_mad_u32_u24 v1, v0, s2, v1
	v_lshrrev_b32_e32 v24, 6, v1
	v_and_b32_e32 v13, 63, v1
	v_lshlrev_b32_e32 v25, 3, v1
	v_cmp_gt_u32_e64 s0, 64, v1
	s_delay_alu instid0(VALU_DEP_4)
	v_cmp_gt_i32_e64 s1, s37, v24
	s_wait_kmcnt 0x0
	s_lshl_b64 s[10:11], s[10:11], 3
	s_lshl_b64 s[4:5], s[26:27], 3
	v_mad_co_u64_u32 v[2:3], null, s20, v24, 0
	s_bitcmp1_b32 s36, 0
	s_add_nc_u64 s[24:25], s[24:25], s[4:5]
	s_cselect_b32 s2, -1, 0
	v_mad_co_u64_u32 v[4:5], null, s12, v24, 0
	s_wait_alu 0xfffe
	s_and_b32 s3, s2, exec_lo
	s_cselect_b32 s44, s38, 0
	s_or_b32 s3, s39, s33
	v_mov_b32_e32 v0, v3
	s_wait_alu 0xfffe
	s_bitset0_b32 s3, 31
	s_xor_b32 s36, s2, -1
	s_wait_alu 0xfffe
	s_cmp_lg_u32 s3, 0
	s_add_nc_u64 s[26:27], s[8:9], s[10:11]
	s_cselect_b32 s41, -1, 0
	s_cmp_eq_u32 s3, 0
	v_mad_co_u64_u32 v[6:7], null, s21, v24, v[0:1]
	s_cselect_b32 s42, -1, 0
	s_lshl_b32 s5, ttmp9, 6
	s_cmp_eq_u32 s38, 0
	v_add_nc_u32_e32 v9, s5, v1
	s_cselect_b32 s3, -1, 0
	v_or_b32_e32 v0, s5, v13
	s_wait_alu 0xfffe
	s_or_b32 s43, s36, s3
	s_cmp_neq_f32 s6, 0
	v_mov_b32_e32 v3, v6
	v_ashrrev_i32_e32 v14, 31, v9
	v_ashrrev_i32_e32 v1, 31, v0
	s_cselect_b32 s45, -1, 0
	s_cmp_neq_f32 s7, 0
	v_lshlrev_b64_e32 v[2:3], 3, v[2:3]
	v_mul_lo_u32 v15, s29, v9
	v_mad_co_u64_u32 v[11:12], null, s28, v9, 0
	s_cselect_b32 s46, -1, 0
	s_lshl_b64 s[18:19], s[18:19], 3
	v_mul_lo_u32 v6, s28, v14
	v_mul_lo_u32 v10, s13, v0
	v_mad_co_u64_u32 v[7:8], null, s12, v0, 0
	v_mul_lo_u32 v16, s12, v1
	s_add_nc_u64 s[16:17], s[16:17], s[18:19]
	v_cmp_gt_i32_e64 s4, s37, v9
	v_add_co_u32 v14, vcc_lo, s16, v2
	v_lshlrev_b64_e32 v[1:2], 3, v[0:1]
	v_add_co_ci_u32_e64 v3, null, s17, v3, vcc_lo
	s_lshl_b64 s[16:17], s[12:13], 3
	v_add3_u32 v12, v12, v6, v15
	s_wait_alu 0xfffe
	s_add_nc_u64 s[28:29], s[16:17], -8
	v_mad_co_u64_u32 v[5:6], null, s13, v24, v[5:6]
	v_add3_u32 v8, v8, v16, v10
	s_wait_alu 0xfffe
	v_mad_co_u64_u32 v[9:10], null, v24, s28, v[1:2]
	v_add_co_u32 v1, vcc_lo, v14, 4
	s_wait_alu 0xfffd
	v_add_co_ci_u32_e64 v2, null, 0, v3, vcc_lo
	v_lshlrev_b64_e32 v[4:5], 3, v[4:5]
	v_lshlrev_b64_e32 v[7:8], 3, v[7:8]
	v_dual_mov_b32 v3, v10 :: v_dual_mov_b32 v10, 0
	v_sub_nc_u32_e32 v6, s44, v13
	v_lshlrev_b64_e32 v[11:12], 3, v[11:12]
	v_cmp_gt_i32_e64 s3, s37, v0
	s_lshl_b64 s[18:19], s[20:21], 7
	v_sub_nc_u32_e32 v28, v0, v24
	v_subrev_nc_u32_e32 v26, s5, v6
	v_add3_u32 v6, s38, s5, v13
	v_mad_co_u64_u32 v[13:14], null, v24, s29, v[3:4]
	v_add_co_u32 v3, vcc_lo, s8, v4
	s_wait_alu 0xfffd
	v_add_co_ci_u32_e64 v4, null, s9, v5, vcc_lo
	v_add_co_u32 v5, vcc_lo, s8, v9
	v_sub_nc_u32_e32 v27, v6, v24
	s_wait_alu 0xfffd
	v_add_co_ci_u32_e64 v6, null, s9, v13, vcc_lo
	s_movk_i32 s20, 0xff80
	s_lshl_b64 s[12:13], s[12:13], 7
	s_mov_b32 s21, -1
	s_lshl_b64 s[16:17], s[22:23], 3
	s_or_b32 s28, s45, s46
	s_lshl_b64 s[8:9], s[14:15], 3
	s_wait_alu 0xfffe
	s_add_nc_u64 s[20:21], s[12:13], s[20:21]
	s_branch .LBB1_8
.LBB1_6:                                ;   in Loop: Header=BB1_8 Depth=1
	v_add_co_u32 v15, vcc_lo, s22, v11
	s_wait_alu 0xfffd
	v_add_co_ci_u32_e64 v16, null, s23, v12, vcc_lo
	global_store_b64 v[15:16], v[13:14], off
.LBB1_7:                                ;   in Loop: Header=BB1_8 Depth=1
	s_wait_alu 0xfffe
	s_or_b32 exec_lo, exec_lo, s5
	s_add_co_i32 s34, s34, 0x10000
	s_wait_alu 0xfffe
	s_cmp_lt_u32 s34, s40
	s_cbranch_scc0 .LBB1_51
.LBB1_8:                                ; =>This Loop Header: Depth=1
                                        ;     Child Loop BB1_14 Depth 2
	s_and_not1_b32 vcc_lo, exec_lo, s41
	s_wait_alu 0xfffe
	s_cbranch_vccnz .LBB1_40
; %bb.9:                                ;   in Loop: Header=BB1_8 Depth=1
	v_dual_mov_b32 v20, 0 :: v_dual_mov_b32 v19, 0
	s_and_saveexec_b32 s22, s1
	s_cbranch_execz .LBB1_39
; %bb.10:                               ;   in Loop: Header=BB1_8 Depth=1
	v_mad_co_u64_u32 v[13:14], null, s16, s34, v[1:2]
	v_mad_co_u64_u32 v[15:16], null, s8, s34, v[3:4]
	;; [unrolled: 1-line block ×3, first 2 shown]
	s_mul_u64 s[44:45], s[14:15], s[34:35]
	s_mul_i32 s5, s9, s34
	v_dual_mov_b32 v9, v14 :: v_dual_mov_b32 v20, 0
	s_wait_alu 0xfffe
	s_lshl_b64 s[44:45], s[44:45], 3
	v_dual_mov_b32 v29, v28 :: v_dual_add_nc_u32 v16, s5, v16
	s_delay_alu instid0(VALU_DEP_2)
	v_mad_co_u64_u32 v[21:22], null, s17, s34, v[9:10]
	s_wait_alu 0xfffe
	s_add_nc_u64 s[44:45], s[26:27], s[44:45]
	v_add_nc_u32_e32 v18, s5, v18
	s_wait_alu 0xfffe
	v_add_co_u32 v30, vcc_lo, s44, v7
	s_wait_alu 0xfffd
	v_add_co_ci_u32_e64 v31, null, s45, v8, vcc_lo
	v_dual_mov_b32 v14, v21 :: v_dual_mov_b32 v19, 0
	v_dual_mov_b32 v21, v27 :: v_dual_mov_b32 v32, v24
	s_mov_b32 s23, 0
	s_branch .LBB1_14
.LBB1_11:                               ;   in Loop: Header=BB1_14 Depth=2
	s_wait_alu 0xfffe
	s_or_b32 exec_lo, exec_lo, s5
.LBB1_12:                               ;   in Loop: Header=BB1_14 Depth=2
	s_wait_alu 0xfffe
	s_or_b32 exec_lo, exec_lo, s44
.LBB1_13:                               ;   in Loop: Header=BB1_14 Depth=2
	s_wait_alu 0xfffe
	s_or_b32 exec_lo, exec_lo, s29
	v_add_nc_u32_e32 v32, 16, v32
	v_add_co_u32 v13, vcc_lo, v13, s18
	s_wait_alu 0xfffd
	v_add_co_ci_u32_e64 v14, null, s19, v14, vcc_lo
	v_add_co_u32 v15, vcc_lo, v15, s12
	s_wait_alu 0xfffd
	v_add_co_ci_u32_e64 v16, null, s13, v16, vcc_lo
	v_cmp_le_i32_e32 vcc_lo, s37, v32
	v_add_co_u32 v17, s5, v17, s20
	v_add_nc_u32_e32 v21, -16, v21
	s_wait_alu 0xf1ff
	v_add_co_ci_u32_e64 v18, null, s21, v18, s5
	v_add_nc_u32_e32 v29, -16, v29
	s_or_b32 s23, vcc_lo, s23
	s_wait_alu 0xfffe
	s_and_not1_b32 exec_lo, exec_lo, s23
	s_cbranch_execz .LBB1_38
.LBB1_14:                               ;   Parent Loop BB1_8 Depth=1
                                        ; =>  This Inner Loop Header: Depth=2
	s_and_saveexec_b32 s29, s3
	s_cbranch_execz .LBB1_13
; %bb.15:                               ;   in Loop: Header=BB1_14 Depth=2
	v_cmp_gt_i32_e32 vcc_lo, v0, v32
	s_wait_alu 0xfffd
	v_cndmask_b32_e64 v9, 0, 1, vcc_lo
	v_cmp_lt_i32_e32 vcc_lo, v0, v32
	s_wait_alu 0xfffd
	v_cndmask_b32_e64 v22, 0, 1, vcc_lo
	s_delay_alu instid0(VALU_DEP_1) | instskip(NEXT) | instid1(VALU_DEP_1)
	v_cndmask_b32_e64 v9, v22, v9, s2
	v_and_b32_e32 v9, 1, v9
	s_delay_alu instid0(VALU_DEP_1)
	v_cmp_eq_u32_e32 vcc_lo, 1, v9
	s_xor_b32 s5, vcc_lo, -1
	s_wait_alu 0xfffe
	s_and_saveexec_b32 s44, s5
	s_wait_alu 0xfffe
	s_xor_b32 s44, exec_lo, s44
	s_cbranch_execz .LBB1_35
; %bb.16:                               ;   in Loop: Header=BB1_14 Depth=2
	v_add_nc_u32_e32 v9, s38, v29
	s_delay_alu instid0(VALU_DEP_1) | instskip(NEXT) | instid1(VALU_DEP_1)
	v_cndmask_b32_e64 v9, v29, v9, s2
	v_cmp_le_i32_e32 vcc_lo, s38, v9
	v_cmp_gt_i32_e64 s5, 1, v9
	s_or_b32 s5, vcc_lo, s5
	s_wait_alu 0xfffe
	s_and_saveexec_b32 s45, s5
	s_wait_alu 0xfffe
	s_xor_b32 s5, exec_lo, s45
	s_cbranch_execz .LBB1_32
; %bb.17:                               ;   in Loop: Header=BB1_14 Depth=2
	s_mov_b32 s45, exec_lo
	v_cmpx_ne_u32_e32 0, v9
	s_wait_alu 0xfffe
	s_xor_b32 s45, exec_lo, s45
	s_cbranch_execz .LBB1_25
; %bb.18:                               ;   in Loop: Header=BB1_14 Depth=2
	s_mov_b32 s46, exec_lo
	v_cmpx_eq_u32_e64 s38, v9
	s_cbranch_execz .LBB1_24
; %bb.19:                               ;   in Loop: Header=BB1_14 Depth=2
	s_and_b32 vcc_lo, exec_lo, s36
	s_mov_b32 s47, -1
                                        ; implicit-def: $vgpr9
                                        ; implicit-def: $vgpr22
	s_wait_alu 0xfffe
	s_cbranch_vccz .LBB1_21
; %bb.20:                               ;   in Loop: Header=BB1_14 Depth=2
	v_add_co_u32 v22, vcc_lo, v17, s10
	s_wait_alu 0xfffd
	v_add_co_ci_u32_e64 v23, null, s11, v18, vcc_lo
	s_mov_b32 s47, 0
	global_load_b64 v[33:34], v[13:14], off offset:-4
	global_load_b64 v[22:23], v[22:23], off
	s_wait_loadcnt 0x0
	v_mul_f32_e32 v9, v34, v23
	s_delay_alu instid0(VALU_DEP_1) | instskip(SKIP_1) | instid1(VALU_DEP_1)
	v_fma_f32 v9, v33, v22, -v9
	v_mul_f32_e32 v23, v33, v23
	v_dual_fmac_f32 v23, v34, v22 :: v_dual_add_f32 v22, v19, v9
	s_delay_alu instid0(VALU_DEP_1)
	v_add_f32_e32 v9, v20, v23
.LBB1_21:                               ;   in Loop: Header=BB1_14 Depth=2
	s_and_not1_b32 vcc_lo, exec_lo, s47
	s_wait_alu 0xfffe
	s_cbranch_vccnz .LBB1_23
; %bb.22:                               ;   in Loop: Header=BB1_14 Depth=2
	v_ashrrev_i32_e32 v22, 31, v21
	s_delay_alu instid0(VALU_DEP_1) | instskip(NEXT) | instid1(VALU_DEP_1)
	v_lshlrev_b64_e32 v[22:23], 3, v[21:22]
	v_add_co_u32 v9, vcc_lo, v15, v22
	s_wait_alu 0xfffd
	s_delay_alu instid0(VALU_DEP_2) | instskip(NEXT) | instid1(VALU_DEP_2)
	v_add_co_ci_u32_e64 v23, null, v16, v23, vcc_lo
	v_add_co_u32 v22, vcc_lo, v9, s10
	s_wait_alu 0xfffd
	s_delay_alu instid0(VALU_DEP_2)
	v_add_co_ci_u32_e64 v23, null, s11, v23, vcc_lo
	global_load_b64 v[33:34], v[13:14], off offset:-4
	global_load_b32 v9, v[22:23], off
	s_wait_loadcnt 0x0
	v_fmac_f32_e32 v20, v9, v34
	v_fmac_f32_e32 v19, v9, v33
	s_delay_alu instid0(VALU_DEP_1)
	v_dual_mov_b32 v9, v20 :: v_dual_mov_b32 v22, v19
.LBB1_23:                               ;   in Loop: Header=BB1_14 Depth=2
	s_delay_alu instid0(VALU_DEP_1)
	v_dual_mov_b32 v20, v9 :: v_dual_mov_b32 v19, v22
.LBB1_24:                               ;   in Loop: Header=BB1_14 Depth=2
	s_or_b32 exec_lo, exec_lo, s46
.LBB1_25:                               ;   in Loop: Header=BB1_14 Depth=2
	s_wait_alu 0xfffe
	s_and_not1_saveexec_b32 s45, s45
	s_cbranch_execz .LBB1_31
; %bb.26:                               ;   in Loop: Header=BB1_14 Depth=2
	v_add_co_u32 v22, vcc_lo, v15, s10
	s_wait_alu 0xfffd
	v_add_co_ci_u32_e64 v23, null, s11, v16, vcc_lo
	s_and_not1_b32 vcc_lo, exec_lo, s43
	s_mov_b32 s46, -1
                                        ; implicit-def: $vgpr33
                                        ; implicit-def: $vgpr9
	s_wait_alu 0xfffe
	s_cbranch_vccnz .LBB1_28
; %bb.27:                               ;   in Loop: Header=BB1_14 Depth=2
	global_load_b32 v35, v[22:23], off
	global_load_b64 v[33:34], v[13:14], off offset:-4
	s_mov_b32 s46, 0
	s_wait_loadcnt 0x0
	v_fma_f32 v9, v35, v33, v19
	v_fma_f32 v33, v35, v34, v20
.LBB1_28:                               ;   in Loop: Header=BB1_14 Depth=2
	s_and_not1_b32 vcc_lo, exec_lo, s46
	s_wait_alu 0xfffe
	s_cbranch_vccnz .LBB1_30
; %bb.29:                               ;   in Loop: Header=BB1_14 Depth=2
	global_load_b64 v[22:23], v[22:23], off
	global_load_b64 v[33:34], v[13:14], off offset:-4
	s_wait_loadcnt 0x0
	v_mul_f32_e32 v9, v34, v23
	v_mul_f32_e32 v23, v33, v23
	s_delay_alu instid0(VALU_DEP_2) | instskip(NEXT) | instid1(VALU_DEP_2)
	v_fma_f32 v9, v33, v22, -v9
	v_fmac_f32_e32 v23, v34, v22
	s_delay_alu instid0(VALU_DEP_2) | instskip(NEXT) | instid1(VALU_DEP_2)
	v_add_f32_e32 v9, v19, v9
	v_add_f32_e32 v33, v20, v23
.LBB1_30:                               ;   in Loop: Header=BB1_14 Depth=2
	s_delay_alu instid0(VALU_DEP_1)
	v_dual_mov_b32 v20, v33 :: v_dual_mov_b32 v19, v9
.LBB1_31:                               ;   in Loop: Header=BB1_14 Depth=2
	s_wait_alu 0xfffe
	s_or_b32 exec_lo, exec_lo, s45
.LBB1_32:                               ;   in Loop: Header=BB1_14 Depth=2
	s_wait_alu 0xfffe
	s_and_not1_saveexec_b32 s5, s5
	s_cbranch_execz .LBB1_34
; %bb.33:                               ;   in Loop: Header=BB1_14 Depth=2
	v_lshlrev_b64_e32 v[22:23], 3, v[9:10]
	v_add_co_u32 v9, vcc_lo, v15, s10
	s_wait_alu 0xfffd
	v_add_co_ci_u32_e64 v33, null, s11, v16, vcc_lo
	s_delay_alu instid0(VALU_DEP_2) | instskip(SKIP_1) | instid1(VALU_DEP_2)
	v_add_co_u32 v22, vcc_lo, v9, v22
	s_wait_alu 0xfffd
	v_add_co_ci_u32_e64 v23, null, v33, v23, vcc_lo
	global_load_b64 v[33:34], v[13:14], off offset:-4
	global_load_b64 v[22:23], v[22:23], off
	s_wait_loadcnt 0x0
	v_mul_f32_e32 v9, v34, v23
	v_mul_f32_e32 v23, v33, v23
	s_delay_alu instid0(VALU_DEP_2) | instskip(NEXT) | instid1(VALU_DEP_2)
	v_fma_f32 v9, v33, v22, -v9
	v_fmac_f32_e32 v23, v34, v22
	s_delay_alu instid0(VALU_DEP_1)
	v_dual_add_f32 v19, v19, v9 :: v_dual_add_f32 v20, v20, v23
.LBB1_34:                               ;   in Loop: Header=BB1_14 Depth=2
	s_wait_alu 0xfffe
	s_or_b32 exec_lo, exec_lo, s5
.LBB1_35:                               ;   in Loop: Header=BB1_14 Depth=2
	s_wait_alu 0xfffe
	s_and_not1_saveexec_b32 s44, s44
	s_cbranch_execz .LBB1_12
; %bb.36:                               ;   in Loop: Header=BB1_14 Depth=2
	v_add_nc_u32_e32 v9, v26, v32
	s_delay_alu instid0(VALU_DEP_1)
	v_cmp_ge_i32_e32 vcc_lo, s38, v9
	v_cmp_lt_i32_e64 s5, -1, v9
	s_and_b32 s45, vcc_lo, s5
	s_wait_alu 0xfffe
	s_and_saveexec_b32 s5, s45
	s_cbranch_execz .LBB1_11
; %bb.37:                               ;   in Loop: Header=BB1_14 Depth=2
	v_lshlrev_b64_e32 v[22:23], 3, v[9:10]
	s_delay_alu instid0(VALU_DEP_1) | instskip(SKIP_1) | instid1(VALU_DEP_2)
	v_add_co_u32 v22, vcc_lo, v30, v22
	s_wait_alu 0xfffd
	v_add_co_ci_u32_e64 v23, null, v31, v23, vcc_lo
	global_load_b64 v[33:34], v[13:14], off offset:-4
	global_load_b64 v[22:23], v[22:23], off
	s_wait_loadcnt 0x0
	v_mul_f32_e32 v9, v23, v34
	v_mul_f32_e32 v23, v23, v33
	s_delay_alu instid0(VALU_DEP_2) | instskip(NEXT) | instid1(VALU_DEP_2)
	v_fmac_f32_e32 v9, v22, v33
	v_fma_f32 v22, v22, v34, -v23
	s_delay_alu instid0(VALU_DEP_1)
	v_dual_add_f32 v19, v19, v9 :: v_dual_add_f32 v20, v20, v22
	s_branch .LBB1_11
.LBB1_38:                               ;   in Loop: Header=BB1_8 Depth=1
	s_or_b32 exec_lo, exec_lo, s23
.LBB1_39:                               ;   in Loop: Header=BB1_8 Depth=1
	s_wait_alu 0xfffe
	s_or_b32 exec_lo, exec_lo, s22
	ds_store_b64 v25, v[19:20]
	s_wait_dscnt 0x0
	s_barrier_signal -1
	s_barrier_wait -1
	global_inv scope:SCOPE_SE
.LBB1_40:                               ;   in Loop: Header=BB1_8 Depth=1
	s_and_saveexec_b32 s5, s0
	s_cbranch_execz .LBB1_7
; %bb.41:                               ;   in Loop: Header=BB1_8 Depth=1
	s_mul_u64 s[22:23], s[30:31], s[34:35]
	s_mov_b32 s29, -1
	s_wait_alu 0xfffe
	s_lshl_b64 s[22:23], s[22:23], 3
	s_and_b32 vcc_lo, exec_lo, s42
	s_wait_alu 0xfffe
	s_add_nc_u64 s[22:23], s[24:25], s[22:23]
	s_cbranch_vccz .LBB1_47
; %bb.42:                               ;   in Loop: Header=BB1_8 Depth=1
	s_and_saveexec_b32 s29, s4
	s_cbranch_execz .LBB1_46
; %bb.43:                               ;   in Loop: Header=BB1_8 Depth=1
	v_dual_mov_b32 v14, 0 :: v_dual_mov_b32 v13, 0
	s_and_not1_b32 vcc_lo, exec_lo, s28
	s_wait_alu 0xfffe
	s_cbranch_vccnz .LBB1_45
; %bb.44:                               ;   in Loop: Header=BB1_8 Depth=1
	v_add_co_u32 v13, vcc_lo, s22, v11
	s_wait_alu 0xfffd
	v_add_co_ci_u32_e64 v14, null, s23, v12, vcc_lo
	global_load_b64 v[15:16], v[13:14], off
	s_wait_loadcnt 0x0
	v_mul_f32_e32 v14, s6, v16
	s_delay_alu instid0(VALU_DEP_1) | instskip(NEXT) | instid1(VALU_DEP_1)
	v_dual_mul_f32 v9, s7, v16 :: v_dual_fmac_f32 v14, s7, v15
	v_fma_f32 v13, s6, v15, -v9
.LBB1_45:                               ;   in Loop: Header=BB1_8 Depth=1
	v_add_co_u32 v15, vcc_lo, s22, v11
	s_wait_alu 0xfffd
	v_add_co_ci_u32_e64 v16, null, s23, v12, vcc_lo
	global_store_b64 v[15:16], v[13:14], off
.LBB1_46:                               ;   in Loop: Header=BB1_8 Depth=1
	s_wait_alu 0xfffe
	s_or_b32 exec_lo, exec_lo, s29
	s_mov_b32 s29, 0
.LBB1_47:                               ;   in Loop: Header=BB1_8 Depth=1
	s_wait_alu 0xfffe
	s_and_not1_b32 vcc_lo, exec_lo, s29
	s_wait_alu 0xfffe
	s_cbranch_vccnz .LBB1_7
; %bb.48:                               ;   in Loop: Header=BB1_8 Depth=1
	ds_load_2addr_stride64_b64 v[13:16], v25 offset1:1
	ds_load_2addr_stride64_b64 v[17:20], v25 offset0:2 offset1:3
	ds_load_2addr_stride64_b64 v[29:32], v25 offset0:4 offset1:5
	s_wait_dscnt 0x2
	v_add_f32_e32 v9, v13, v15
	v_add_f32_e32 v21, v14, v16
	ds_load_2addr_stride64_b64 v[13:16], v25 offset0:6 offset1:7
	s_wait_dscnt 0x2
	v_add_f32_e32 v9, v9, v17
	v_add_f32_e32 v17, v21, v18
	s_delay_alu instid0(VALU_DEP_2) | instskip(NEXT) | instid1(VALU_DEP_2)
	v_add_f32_e32 v9, v9, v19
	v_add_f32_e32 v21, v17, v20
	ds_load_2addr_stride64_b64 v[17:20], v25 offset0:8 offset1:9
	s_wait_dscnt 0x2
	v_add_f32_e32 v9, v9, v29
	v_add_f32_e32 v21, v21, v30
	s_delay_alu instid0(VALU_DEP_2) | instskip(NEXT) | instid1(VALU_DEP_2)
	;; [unrolled: 7-line block ×5, first 2 shown]
	v_add_f32_e32 v9, v9, v31
	v_add_f32_e32 v21, v21, v32
	s_wait_dscnt 0x1
	s_delay_alu instid0(VALU_DEP_2) | instskip(NEXT) | instid1(VALU_DEP_2)
	v_add_f32_e32 v9, v9, v13
	v_add_f32_e32 v13, v21, v14
	s_delay_alu instid0(VALU_DEP_2) | instskip(NEXT) | instid1(VALU_DEP_2)
	v_add_f32_e32 v9, v9, v15
	v_add_f32_e32 v13, v13, v16
	s_wait_dscnt 0x0
	s_delay_alu instid0(VALU_DEP_2) | instskip(NEXT) | instid1(VALU_DEP_2)
	v_add_f32_e32 v9, v9, v17
	v_add_f32_e32 v13, v13, v18
	s_delay_alu instid0(VALU_DEP_2) | instskip(NEXT) | instid1(VALU_DEP_2)
	v_add_f32_e32 v15, v9, v19
	v_add_f32_e32 v16, v13, v20
	ds_store_b64 v25, v[15:16]
	s_and_b32 exec_lo, exec_lo, s4
	s_cbranch_execz .LBB1_7
; %bb.49:                               ;   in Loop: Header=BB1_8 Depth=1
	v_mul_f32_e32 v14, s39, v16
	v_mul_f32_e32 v9, s33, v16
	s_and_not1_b32 vcc_lo, exec_lo, s28
	s_delay_alu instid0(VALU_DEP_2) | instskip(NEXT) | instid1(VALU_DEP_2)
	v_fmac_f32_e32 v14, s33, v15
	v_fma_f32 v13, v15, s39, -v9
	s_wait_alu 0xfffe
	s_cbranch_vccnz .LBB1_6
; %bb.50:                               ;   in Loop: Header=BB1_8 Depth=1
	v_add_co_u32 v15, vcc_lo, s22, v11
	s_wait_alu 0xfffd
	v_add_co_ci_u32_e64 v16, null, s23, v12, vcc_lo
	global_load_b64 v[15:16], v[15:16], off
	s_wait_loadcnt 0x0
	v_mul_f32_e32 v9, s7, v16
	v_mul_f32_e32 v16, s6, v16
	s_delay_alu instid0(VALU_DEP_1) | instskip(NEXT) | instid1(VALU_DEP_3)
	v_fmac_f32_e32 v16, s7, v15
	v_fma_f32 v9, s6, v15, -v9
	s_delay_alu instid0(VALU_DEP_1)
	v_dual_add_f32 v14, v14, v16 :: v_dual_add_f32 v13, v13, v9
	s_branch .LBB1_6
.LBB1_51:
	s_endpgm
	.section	.rodata,"a",@progbits
	.p2align	6, 0x0
	.amdhsa_kernel _ZL20rocblas_hbmvn_kernelILi64ELi16E19rocblas_complex_numIfEPKS1_PS1_EvbiiT1_T2_lllS6_lllS5_T3_llli
		.amdhsa_group_segment_fixed_size 8192
		.amdhsa_private_segment_fixed_size 0
		.amdhsa_kernarg_size 392
		.amdhsa_user_sgpr_count 2
		.amdhsa_user_sgpr_dispatch_ptr 0
		.amdhsa_user_sgpr_queue_ptr 0
		.amdhsa_user_sgpr_kernarg_segment_ptr 1
		.amdhsa_user_sgpr_dispatch_id 0
		.amdhsa_user_sgpr_private_segment_size 0
		.amdhsa_wavefront_size32 1
		.amdhsa_uses_dynamic_stack 0
		.amdhsa_enable_private_segment 0
		.amdhsa_system_sgpr_workgroup_id_x 1
		.amdhsa_system_sgpr_workgroup_id_y 0
		.amdhsa_system_sgpr_workgroup_id_z 1
		.amdhsa_system_sgpr_workgroup_info 0
		.amdhsa_system_vgpr_workitem_id 1
		.amdhsa_next_free_vgpr 36
		.amdhsa_next_free_sgpr 48
		.amdhsa_reserve_vcc 1
		.amdhsa_float_round_mode_32 0
		.amdhsa_float_round_mode_16_64 0
		.amdhsa_float_denorm_mode_32 3
		.amdhsa_float_denorm_mode_16_64 3
		.amdhsa_fp16_overflow 0
		.amdhsa_workgroup_processor_mode 1
		.amdhsa_memory_ordered 1
		.amdhsa_forward_progress 1
		.amdhsa_inst_pref_size 20
		.amdhsa_round_robin_scheduling 0
		.amdhsa_exception_fp_ieee_invalid_op 0
		.amdhsa_exception_fp_denorm_src 0
		.amdhsa_exception_fp_ieee_div_zero 0
		.amdhsa_exception_fp_ieee_overflow 0
		.amdhsa_exception_fp_ieee_underflow 0
		.amdhsa_exception_fp_ieee_inexact 0
		.amdhsa_exception_int_div_zero 0
	.end_amdhsa_kernel
	.section	.text._ZL20rocblas_hbmvn_kernelILi64ELi16E19rocblas_complex_numIfEPKS1_PS1_EvbiiT1_T2_lllS6_lllS5_T3_llli,"axG",@progbits,_ZL20rocblas_hbmvn_kernelILi64ELi16E19rocblas_complex_numIfEPKS1_PS1_EvbiiT1_T2_lllS6_lllS5_T3_llli,comdat
.Lfunc_end1:
	.size	_ZL20rocblas_hbmvn_kernelILi64ELi16E19rocblas_complex_numIfEPKS1_PS1_EvbiiT1_T2_lllS6_lllS5_T3_llli, .Lfunc_end1-_ZL20rocblas_hbmvn_kernelILi64ELi16E19rocblas_complex_numIfEPKS1_PS1_EvbiiT1_T2_lllS6_lllS5_T3_llli
                                        ; -- End function
	.set _ZL20rocblas_hbmvn_kernelILi64ELi16E19rocblas_complex_numIfEPKS1_PS1_EvbiiT1_T2_lllS6_lllS5_T3_llli.num_vgpr, 36
	.set _ZL20rocblas_hbmvn_kernelILi64ELi16E19rocblas_complex_numIfEPKS1_PS1_EvbiiT1_T2_lllS6_lllS5_T3_llli.num_agpr, 0
	.set _ZL20rocblas_hbmvn_kernelILi64ELi16E19rocblas_complex_numIfEPKS1_PS1_EvbiiT1_T2_lllS6_lllS5_T3_llli.numbered_sgpr, 48
	.set _ZL20rocblas_hbmvn_kernelILi64ELi16E19rocblas_complex_numIfEPKS1_PS1_EvbiiT1_T2_lllS6_lllS5_T3_llli.num_named_barrier, 0
	.set _ZL20rocblas_hbmvn_kernelILi64ELi16E19rocblas_complex_numIfEPKS1_PS1_EvbiiT1_T2_lllS6_lllS5_T3_llli.private_seg_size, 0
	.set _ZL20rocblas_hbmvn_kernelILi64ELi16E19rocblas_complex_numIfEPKS1_PS1_EvbiiT1_T2_lllS6_lllS5_T3_llli.uses_vcc, 1
	.set _ZL20rocblas_hbmvn_kernelILi64ELi16E19rocblas_complex_numIfEPKS1_PS1_EvbiiT1_T2_lllS6_lllS5_T3_llli.uses_flat_scratch, 0
	.set _ZL20rocblas_hbmvn_kernelILi64ELi16E19rocblas_complex_numIfEPKS1_PS1_EvbiiT1_T2_lllS6_lllS5_T3_llli.has_dyn_sized_stack, 0
	.set _ZL20rocblas_hbmvn_kernelILi64ELi16E19rocblas_complex_numIfEPKS1_PS1_EvbiiT1_T2_lllS6_lllS5_T3_llli.has_recursion, 0
	.set _ZL20rocblas_hbmvn_kernelILi64ELi16E19rocblas_complex_numIfEPKS1_PS1_EvbiiT1_T2_lllS6_lllS5_T3_llli.has_indirect_call, 0
	.section	.AMDGPU.csdata,"",@progbits
; Kernel info:
; codeLenInByte = 2556
; TotalNumSgprs: 50
; NumVgprs: 36
; ScratchSize: 0
; MemoryBound: 0
; FloatMode: 240
; IeeeMode: 1
; LDSByteSize: 8192 bytes/workgroup (compile time only)
; SGPRBlocks: 0
; VGPRBlocks: 4
; NumSGPRsForWavesPerEU: 50
; NumVGPRsForWavesPerEU: 36
; Occupancy: 16
; WaveLimiterHint : 1
; COMPUTE_PGM_RSRC2:SCRATCH_EN: 0
; COMPUTE_PGM_RSRC2:USER_SGPR: 2
; COMPUTE_PGM_RSRC2:TRAP_HANDLER: 0
; COMPUTE_PGM_RSRC2:TGID_X_EN: 1
; COMPUTE_PGM_RSRC2:TGID_Y_EN: 0
; COMPUTE_PGM_RSRC2:TGID_Z_EN: 1
; COMPUTE_PGM_RSRC2:TIDIG_COMP_CNT: 1
	.section	.text._ZL20rocblas_hbmvn_kernelILi64ELi16EPK19rocblas_complex_numIdES3_PS1_EvbiiT1_T2_lllS6_lllS5_T3_llli,"axG",@progbits,_ZL20rocblas_hbmvn_kernelILi64ELi16EPK19rocblas_complex_numIdES3_PS1_EvbiiT1_T2_lllS6_lllS5_T3_llli,comdat
	.globl	_ZL20rocblas_hbmvn_kernelILi64ELi16EPK19rocblas_complex_numIdES3_PS1_EvbiiT1_T2_lllS6_lllS5_T3_llli ; -- Begin function _ZL20rocblas_hbmvn_kernelILi64ELi16EPK19rocblas_complex_numIdES3_PS1_EvbiiT1_T2_lllS6_lllS5_T3_llli
	.p2align	8
	.type	_ZL20rocblas_hbmvn_kernelILi64ELi16EPK19rocblas_complex_numIdES3_PS1_EvbiiT1_T2_lllS6_lllS5_T3_llli,@function
_ZL20rocblas_hbmvn_kernelILi64ELi16EPK19rocblas_complex_numIdES3_PS1_EvbiiT1_T2_lllS6_lllS5_T3_llli: ; @_ZL20rocblas_hbmvn_kernelILi64ELi16EPK19rocblas_complex_numIdES3_PS1_EvbiiT1_T2_lllS6_lllS5_T3_llli
; %bb.0:
	s_load_b64 s[2:3], s[0:1], 0x94
	s_wait_kmcnt 0x0
	s_lshr_b32 s4, s2, 16
	s_and_b32 s2, s2, 0xffff
	s_and_b32 s3, s3, 0xffff
	s_mul_i32 s4, s4, s2
	s_delay_alu instid0(SALU_CYCLE_1) | instskip(NEXT) | instid1(SALU_CYCLE_1)
	s_mul_i32 s4, s4, s3
	s_cmp_lg_u32 s4, 0x400
	s_cbranch_scc1 .LBB2_54
; %bb.1:
	s_clause 0x1
	s_load_b512 s[4:19], s[0:1], 0x10
	s_load_b256 s[20:27], s[0:1], 0x50
	s_wait_kmcnt 0x0
	s_load_b128 s[28:31], s[4:5], 0x0
	s_load_b128 s[36:39], s[22:23], 0x0
	s_wait_kmcnt 0x0
	v_cmp_neq_f64_e64 s3, s[28:29], 0
	v_cmp_neq_f64_e64 s4, s[30:31], 0
	s_or_b32 s33, s3, s4
	s_mov_b32 s3, -1
	s_and_b32 vcc_lo, exec_lo, s33
	s_cbranch_vccnz .LBB2_3
; %bb.2:
	v_cmp_neq_f64_e64 s3, s[36:37], 1.0
	v_cmp_neq_f64_e64 s4, s[38:39], 0
	s_or_b32 s3, s3, s4
.LBB2_3:
	s_delay_alu instid0(SALU_CYCLE_1)
	s_and_not1_b32 vcc_lo, exec_lo, s3
	s_cbranch_vccnz .LBB2_54
; %bb.4:
	s_load_b32 s34, s[0:1], 0x80
	s_lshr_b32 s22, ttmp7, 16
	s_wait_kmcnt 0x0
	s_cmp_ge_u32 s22, s34
	s_cbranch_scc1 .LBB2_54
; %bb.5:
	s_clause 0x1
	s_load_b96 s[44:46], s[0:1], 0x0
	s_load_b128 s[40:43], s[0:1], 0x70
	v_and_b32_e32 v1, 0x3ff, v0
	v_bfe_u32 v0, v0, 10, 10
	s_xor_b32 s35, s33, -1
	s_lshl_b64 s[8:9], s[8:9], 4
	s_lshl_b64 s[0:1], s[26:27], 4
	v_cmp_neq_f64_e64 s5, s[36:37], 0
	v_mad_u32_u24 v6, v0, s2, v1
	s_add_nc_u64 s[24:25], s[24:25], s[0:1]
	v_cmp_neq_f64_e64 s47, s[38:39], 0
	s_add_nc_u64 s[26:27], s[6:7], s[8:9]
	s_mov_b32 s23, 0
	v_and_b32_e32 v7, 63, v6
	v_lshrrev_b32_e32 v24, 6, v6
	v_lshlrev_b32_e32 v27, 4, v6
	v_cmp_gt_u32_e64 s3, 64, v6
	v_mov_b32_e32 v15, 0
	s_delay_alu instid0(VALU_DEP_4) | instskip(SKIP_4) | instid1(SALU_CYCLE_1)
	v_mad_co_u64_u32 v[0:1], null, s18, v24, 0
	s_wait_kmcnt 0x0
	s_bitcmp1_b32 s44, 0
	v_cmp_gt_i32_e64 s1, s45, v24
	s_cselect_b32 s0, -1, 0
	s_and_b32 s2, s0, exec_lo
	s_cselect_b32 s44, s46, 0
	s_lshl_b32 s50, ttmp9, 6
	v_mad_co_u64_u32 v[1:2], null, s19, v24, v[1:2]
	v_or_b32_e32 v8, s50, v7
	v_add3_u32 v3, s46, s50, v7
	v_add_nc_u32_e32 v12, s50, v6
	s_wait_alu 0xfffe
	v_sub_nc_u32_e32 v7, s44, v7
	v_ashrrev_i32_e32 v9, 31, v8
	v_mul_lo_u32 v4, s11, v8
	v_sub_nc_u32_e32 v25, v3, v24
	v_mad_co_u64_u32 v[2:3], null, s10, v8, 0
	s_delay_alu instid0(VALU_DEP_4)
	v_mul_lo_u32 v10, s10, v9
	v_sub_nc_u32_e32 v5, v8, v24
	v_ashrrev_i32_e32 v11, 31, v12
	v_mul_lo_u32 v13, s41, v12
	s_xor_b32 s41, s0, -1
	s_cmp_eq_u32 s46, 0
	v_cndmask_b32_e64 v26, v5, v25, s0
	v_mul_lo_u32 v14, s40, v11
	v_add3_u32 v3, v3, v10, v4
	v_mad_co_u64_u32 v[4:5], null, s10, v24, 0
	v_mad_co_u64_u32 v[10:11], null, s40, v12, 0
	v_lshlrev_b64_e32 v[0:1], 4, v[0:1]
	s_cselect_b32 s51, -1, 0
	s_lshl_b64 s[16:17], s[16:17], 4
	v_cmp_gt_i32_e64 s4, s45, v12
	s_add_nc_u64 s[14:15], s[14:15], s[16:17]
	v_mad_co_u64_u32 v[5:6], null, s11, v24, v[5:6]
	v_add_co_u32 v6, vcc_lo, s14, v0
	v_add3_u32 v11, v11, v14, v13
	v_add_co_ci_u32_e64 v13, null, s15, v1, vcc_lo
	v_lshlrev_b64_e32 v[0:1], 4, v[8:9]
	s_lshl_b64 s[14:15], s[10:11], 4
	v_lshlrev_b64_e32 v[4:5], 4, v[4:5]
	s_wait_alu 0xfffe
	s_add_nc_u64 s[48:49], s[14:15], -16
	v_add_co_u32 v12, vcc_lo, v6, 8
	v_mad_co_u64_u32 v[0:1], null, v24, s48, v[0:1]
	s_wait_alu 0xfffd
	v_add_co_ci_u32_e64 v13, null, 0, v13, vcc_lo
	v_add_co_u32 v28, vcc_lo, s6, v4
	s_wait_alu 0xfffd
	v_add_co_ci_u32_e64 v29, null, s7, v5, vcc_lo
	s_delay_alu instid0(VALU_DEP_4) | instskip(NEXT) | instid1(VALU_DEP_3)
	v_mad_co_u64_u32 v[4:5], null, v24, s49, v[1:2]
	v_add_co_u32 v30, vcc_lo, v28, 8
	s_wait_alu 0xfffd
	s_delay_alu instid0(VALU_DEP_3) | instskip(SKIP_2) | instid1(VALU_DEP_4)
	v_add_co_ci_u32_e64 v31, null, 0, v29, vcc_lo
	v_add_co_u32 v0, vcc_lo, s6, v0
	s_wait_alu 0xfffd
	v_add_co_ci_u32_e64 v1, null, s7, v4, vcc_lo
	v_lshlrev_b64_e32 v[16:17], 4, v[2:3]
	s_delay_alu instid0(VALU_DEP_3)
	v_add_co_u32 v32, vcc_lo, v0, 8
	v_cmp_gt_i32_e64 s2, s45, v8
	s_lshl_b64 s[16:17], s[18:19], 8
	v_subrev_nc_u32_e32 v9, s50, v7
	s_wait_alu 0xfffd
	v_add_co_ci_u32_e64 v33, null, 0, v1, vcc_lo
	s_movk_i32 s18, 0xff00
	s_lshl_b64 s[6:7], s[10:11], 8
	s_mov_b32 s19, -1
	s_or_b32 s40, s5, s47
	s_lshl_b64 s[14:15], s[20:21], 4
	s_or_b32 s44, s41, s51
	s_lshl_b64 s[10:11], s[12:13], 4
	s_wait_alu 0xfffe
	s_add_nc_u64 s[18:19], s[6:7], s[18:19]
	s_branch .LBB2_7
.LBB2_6:                                ;   in Loop: Header=BB2_7 Depth=1
	s_wait_alu 0xfffe
	s_or_b32 exec_lo, exec_lo, s5
	s_add_co_i32 s22, s22, 0x10000
	s_wait_alu 0xfffe
	s_cmp_lt_u32 s22, s34
	s_cbranch_scc0 .LBB2_54
.LBB2_7:                                ; =>This Loop Header: Depth=1
                                        ;     Child Loop BB2_13 Depth 2
	s_and_not1_b32 vcc_lo, exec_lo, s33
	s_wait_alu 0xfffe
	s_cbranch_vccnz .LBB2_39
; %bb.8:                                ;   in Loop: Header=BB2_7 Depth=1
	v_mov_b32_e32 v2, 0
	v_dual_mov_b32 v3, 0 :: v_dual_mov_b32 v0, 0
	v_mov_b32_e32 v1, 0
	s_and_saveexec_b32 s47, s1
	s_cbranch_execz .LBB2_38
; %bb.9:                                ;   in Loop: Header=BB2_7 Depth=1
	v_mad_co_u64_u32 v[4:5], null, s14, s22, v[12:13]
	s_mul_u64 s[20:21], s[10:11], s[22:23]
	v_mov_b32_e32 v2, 0
	s_wait_alu 0xfffe
	v_add_co_u32 v34, vcc_lo, v30, s20
	s_mul_u64 s[48:49], s[12:13], s[22:23]
	s_wait_alu 0xfffd
	v_add_co_ci_u32_e64 v35, null, s21, v31, vcc_lo
	v_dual_mov_b32 v0, v5 :: v_dual_mov_b32 v3, 0
	v_add_co_u32 v36, vcc_lo, v28, s20
	s_wait_alu 0xfffd
	v_add_co_ci_u32_e64 v37, null, s21, v29, vcc_lo
	s_delay_alu instid0(VALU_DEP_3)
	v_mad_co_u64_u32 v[0:1], null, s15, s22, v[0:1]
	s_wait_alu 0xfffe
	s_lshl_b64 s[48:49], s[48:49], 4
	v_add_co_u32 v38, vcc_lo, v32, s20
	s_wait_alu 0xfffd
	v_add_co_ci_u32_e64 v39, null, s21, v33, vcc_lo
	s_wait_alu 0xfffe
	s_add_nc_u64 s[20:21], s[26:27], s[48:49]
	v_dual_mov_b32 v5, v0 :: v_dual_mov_b32 v6, v25
	s_wait_alu 0xfffe
	v_add_co_u32 v40, vcc_lo, s20, v16
	v_mov_b32_e32 v0, 0
	s_wait_alu 0xfffd
	v_add_co_ci_u32_e64 v41, null, s21, v17, vcc_lo
	v_dual_mov_b32 v1, 0 :: v_dual_mov_b32 v42, v24
	s_mov_b64 s[20:21], 0
	s_mov_b32 s48, 0
	s_branch .LBB2_13
.LBB2_10:                               ;   in Loop: Header=BB2_13 Depth=2
	s_wait_alu 0xfffe
	s_or_b32 exec_lo, exec_lo, s5
.LBB2_11:                               ;   in Loop: Header=BB2_13 Depth=2
	s_wait_alu 0xfffe
	s_or_b32 exec_lo, exec_lo, s50
.LBB2_12:                               ;   in Loop: Header=BB2_13 Depth=2
	s_wait_alu 0xfffe
	s_or_b32 exec_lo, exec_lo, s49
	v_add_co_u32 v4, vcc_lo, v4, s16
	v_add_nc_u32_e32 v42, 16, v42
	s_wait_alu 0xfffd
	v_add_co_ci_u32_e64 v5, null, s17, v5, vcc_lo
	v_add_co_u32 v34, vcc_lo, v34, s6
	s_wait_alu 0xfffd
	v_add_co_ci_u32_e64 v35, null, s7, v35, vcc_lo
	v_add_co_u32 v36, vcc_lo, v36, s6
	s_wait_alu 0xfffd
	v_add_co_ci_u32_e64 v37, null, s7, v37, vcc_lo
	v_cmp_le_i32_e32 vcc_lo, s45, v42
	v_add_co_u32 v38, s5, v38, s18
	v_add_nc_u32_e32 v6, -16, v6
	s_wait_alu 0xf1ff
	v_add_co_ci_u32_e64 v39, null, s19, v39, s5
	s_or_b32 s48, vcc_lo, s48
	s_add_nc_u64 s[20:21], s[20:21], -16
	s_wait_alu 0xfffe
	s_and_not1_b32 exec_lo, exec_lo, s48
	s_cbranch_execz .LBB2_37
.LBB2_13:                               ;   Parent Loop BB2_7 Depth=1
                                        ; =>  This Inner Loop Header: Depth=2
	s_and_saveexec_b32 s49, s2
	s_cbranch_execz .LBB2_12
; %bb.14:                               ;   in Loop: Header=BB2_13 Depth=2
	v_cmp_gt_i32_e32 vcc_lo, v8, v42
	s_wait_alu 0xfffd
	v_cndmask_b32_e64 v7, 0, 1, vcc_lo
	v_cmp_lt_i32_e32 vcc_lo, v8, v42
	s_wait_alu 0xfffd
	v_cndmask_b32_e64 v14, 0, 1, vcc_lo
	s_delay_alu instid0(VALU_DEP_1) | instskip(NEXT) | instid1(VALU_DEP_1)
	v_cndmask_b32_e64 v7, v14, v7, s0
	v_and_b32_e32 v7, 1, v7
	s_delay_alu instid0(VALU_DEP_1)
	v_cmp_eq_u32_e32 vcc_lo, 1, v7
	s_xor_b32 s5, vcc_lo, -1
	s_wait_alu 0xfffe
	s_and_saveexec_b32 s50, s5
	s_wait_alu 0xfffe
	s_xor_b32 s50, exec_lo, s50
	s_cbranch_execz .LBB2_34
; %bb.15:                               ;   in Loop: Header=BB2_13 Depth=2
	v_add_nc_u32_e32 v14, s20, v26
	s_delay_alu instid0(VALU_DEP_1)
	v_cmp_le_i32_e32 vcc_lo, s46, v14
	v_cmp_gt_i32_e64 s5, 1, v14
	s_or_b32 s5, vcc_lo, s5
	s_wait_alu 0xfffe
	s_and_saveexec_b32 s51, s5
	s_wait_alu 0xfffe
	s_xor_b32 s5, exec_lo, s51
	s_cbranch_execz .LBB2_31
; %bb.16:                               ;   in Loop: Header=BB2_13 Depth=2
	s_mov_b32 s51, exec_lo
	v_cmpx_ne_u32_e32 0, v14
	s_wait_alu 0xfffe
	s_xor_b32 s51, exec_lo, s51
	s_cbranch_execz .LBB2_24
; %bb.17:                               ;   in Loop: Header=BB2_13 Depth=2
	s_mov_b32 s52, exec_lo
	v_cmpx_eq_u32_e64 s46, v14
	s_cbranch_execz .LBB2_23
; %bb.18:                               ;   in Loop: Header=BB2_13 Depth=2
	s_and_b32 vcc_lo, exec_lo, s41
	s_mov_b32 s53, -1
                                        ; implicit-def: $vgpr20_vgpr21
                                        ; implicit-def: $vgpr18_vgpr19
	s_wait_alu 0xfffe
	s_cbranch_vccz .LBB2_20
; %bb.19:                               ;   in Loop: Header=BB2_13 Depth=2
	v_add_co_u32 v22, vcc_lo, v38, s8
	s_wait_alu 0xfffd
	v_add_co_ci_u32_e64 v23, null, s9, v39, vcc_lo
	s_mov_b32 s53, 0
	global_load_b128 v[18:21], v[4:5], off offset:-8
	global_load_b128 v[43:46], v[22:23], off offset:-8
	s_wait_loadcnt 0x0
	v_mul_f64_e32 v[22:23], v[20:21], v[45:46]
	v_mul_f64_e32 v[45:46], v[18:19], v[45:46]
	s_delay_alu instid0(VALU_DEP_2) | instskip(NEXT) | instid1(VALU_DEP_2)
	v_fma_f64 v[18:19], v[18:19], v[43:44], -v[22:23]
	v_fma_f64 v[20:21], v[20:21], v[43:44], v[45:46]
	s_delay_alu instid0(VALU_DEP_2) | instskip(NEXT) | instid1(VALU_DEP_2)
	v_add_f64_e32 v[18:19], v[0:1], v[18:19]
	v_add_f64_e32 v[20:21], v[2:3], v[20:21]
.LBB2_20:                               ;   in Loop: Header=BB2_13 Depth=2
	s_and_not1_b32 vcc_lo, exec_lo, s53
	s_wait_alu 0xfffe
	s_cbranch_vccnz .LBB2_22
; %bb.21:                               ;   in Loop: Header=BB2_13 Depth=2
	v_ashrrev_i32_e32 v7, 31, v6
	s_delay_alu instid0(VALU_DEP_1) | instskip(NEXT) | instid1(VALU_DEP_1)
	v_lshlrev_b64_e32 v[18:19], 4, v[6:7]
	v_add_co_u32 v7, vcc_lo, v36, v18
	s_wait_alu 0xfffd
	s_delay_alu instid0(VALU_DEP_2) | instskip(NEXT) | instid1(VALU_DEP_2)
	v_add_co_ci_u32_e64 v14, null, v37, v19, vcc_lo
	v_add_co_u32 v22, vcc_lo, v7, s8
	s_wait_alu 0xfffd
	s_delay_alu instid0(VALU_DEP_2)
	v_add_co_ci_u32_e64 v23, null, s9, v14, vcc_lo
	global_load_b128 v[18:21], v[4:5], off offset:-8
	global_load_b64 v[22:23], v[22:23], off
	s_wait_loadcnt 0x0
	v_fma_f64 v[18:19], v[22:23], v[18:19], v[0:1]
	v_fma_f64 v[20:21], v[22:23], v[20:21], v[2:3]
.LBB2_22:                               ;   in Loop: Header=BB2_13 Depth=2
	s_delay_alu instid0(VALU_DEP_1) | instskip(NEXT) | instid1(VALU_DEP_3)
	v_dual_mov_b32 v2, v20 :: v_dual_mov_b32 v3, v21
	v_dual_mov_b32 v0, v18 :: v_dual_mov_b32 v1, v19
.LBB2_23:                               ;   in Loop: Header=BB2_13 Depth=2
	s_or_b32 exec_lo, exec_lo, s52
.LBB2_24:                               ;   in Loop: Header=BB2_13 Depth=2
	s_wait_alu 0xfffe
	s_and_not1_saveexec_b32 s51, s51
	s_cbranch_execz .LBB2_30
; %bb.25:                               ;   in Loop: Header=BB2_13 Depth=2
	v_add_co_u32 v18, vcc_lo, v34, s8
	s_wait_alu 0xfffd
	v_add_co_ci_u32_e64 v19, null, s9, v35, vcc_lo
	s_and_not1_b32 vcc_lo, exec_lo, s44
	s_mov_b32 s52, -1
                                        ; implicit-def: $vgpr22_vgpr23
                                        ; implicit-def: $vgpr20_vgpr21
	s_wait_alu 0xfffe
	s_cbranch_vccnz .LBB2_27
; %bb.26:                               ;   in Loop: Header=BB2_13 Depth=2
	global_load_b64 v[43:44], v[18:19], off offset:-8
	global_load_b128 v[20:23], v[4:5], off offset:-8
	s_mov_b32 s52, 0
	s_wait_loadcnt 0x0
	v_fma_f64 v[20:21], v[43:44], v[20:21], v[0:1]
	v_fma_f64 v[22:23], v[43:44], v[22:23], v[2:3]
.LBB2_27:                               ;   in Loop: Header=BB2_13 Depth=2
	s_and_not1_b32 vcc_lo, exec_lo, s52
	s_wait_alu 0xfffe
	s_cbranch_vccnz .LBB2_29
; %bb.28:                               ;   in Loop: Header=BB2_13 Depth=2
	global_load_b128 v[20:23], v[4:5], off offset:-8
	global_load_b128 v[43:46], v[18:19], off offset:-8
	s_wait_loadcnt 0x0
	v_mul_f64_e32 v[18:19], v[22:23], v[45:46]
	v_mul_f64_e32 v[45:46], v[20:21], v[45:46]
	s_delay_alu instid0(VALU_DEP_2) | instskip(NEXT) | instid1(VALU_DEP_2)
	v_fma_f64 v[18:19], v[20:21], v[43:44], -v[18:19]
	v_fma_f64 v[22:23], v[22:23], v[43:44], v[45:46]
	s_delay_alu instid0(VALU_DEP_2) | instskip(NEXT) | instid1(VALU_DEP_2)
	v_add_f64_e32 v[20:21], v[0:1], v[18:19]
	v_add_f64_e32 v[22:23], v[2:3], v[22:23]
.LBB2_29:                               ;   in Loop: Header=BB2_13 Depth=2
	s_delay_alu instid0(VALU_DEP_1) | instskip(NEXT) | instid1(VALU_DEP_3)
	v_dual_mov_b32 v2, v22 :: v_dual_mov_b32 v3, v23
	v_dual_mov_b32 v0, v20 :: v_dual_mov_b32 v1, v21
.LBB2_30:                               ;   in Loop: Header=BB2_13 Depth=2
	s_wait_alu 0xfffe
	s_or_b32 exec_lo, exec_lo, s51
.LBB2_31:                               ;   in Loop: Header=BB2_13 Depth=2
	s_wait_alu 0xfffe
	s_and_not1_saveexec_b32 s5, s5
	s_cbranch_execz .LBB2_33
; %bb.32:                               ;   in Loop: Header=BB2_13 Depth=2
	v_lshlrev_b64_e32 v[18:19], 4, v[14:15]
	v_add_co_u32 v7, vcc_lo, v34, s8
	s_wait_alu 0xfffd
	v_add_co_ci_u32_e64 v14, null, s9, v35, vcc_lo
	s_delay_alu instid0(VALU_DEP_2) | instskip(SKIP_1) | instid1(VALU_DEP_2)
	v_add_co_u32 v22, vcc_lo, v7, v18
	s_wait_alu 0xfffd
	v_add_co_ci_u32_e64 v23, null, v14, v19, vcc_lo
	global_load_b128 v[18:21], v[4:5], off offset:-8
	global_load_b128 v[43:46], v[22:23], off offset:-8
	s_wait_loadcnt 0x0
	v_mul_f64_e32 v[22:23], v[20:21], v[45:46]
	v_mul_f64_e32 v[45:46], v[18:19], v[45:46]
	s_delay_alu instid0(VALU_DEP_2) | instskip(NEXT) | instid1(VALU_DEP_2)
	v_fma_f64 v[18:19], v[18:19], v[43:44], -v[22:23]
	v_fma_f64 v[20:21], v[20:21], v[43:44], v[45:46]
	s_delay_alu instid0(VALU_DEP_2) | instskip(NEXT) | instid1(VALU_DEP_2)
	v_add_f64_e32 v[0:1], v[0:1], v[18:19]
	v_add_f64_e32 v[2:3], v[2:3], v[20:21]
.LBB2_33:                               ;   in Loop: Header=BB2_13 Depth=2
	s_wait_alu 0xfffe
	s_or_b32 exec_lo, exec_lo, s5
.LBB2_34:                               ;   in Loop: Header=BB2_13 Depth=2
	s_wait_alu 0xfffe
	s_and_not1_saveexec_b32 s50, s50
	s_cbranch_execz .LBB2_11
; %bb.35:                               ;   in Loop: Header=BB2_13 Depth=2
	v_add_nc_u32_e32 v14, v9, v42
	s_delay_alu instid0(VALU_DEP_1)
	v_cmp_ge_i32_e32 vcc_lo, s46, v14
	v_cmp_lt_i32_e64 s5, -1, v14
	s_and_b32 s51, vcc_lo, s5
	s_wait_alu 0xfffe
	s_and_saveexec_b32 s5, s51
	s_cbranch_execz .LBB2_10
; %bb.36:                               ;   in Loop: Header=BB2_13 Depth=2
	v_lshlrev_b64_e32 v[18:19], 4, v[14:15]
	s_delay_alu instid0(VALU_DEP_1) | instskip(SKIP_1) | instid1(VALU_DEP_2)
	v_add_co_u32 v22, vcc_lo, v40, v18
	s_wait_alu 0xfffd
	v_add_co_ci_u32_e64 v23, null, v41, v19, vcc_lo
	global_load_b128 v[18:21], v[4:5], off offset:-8
	global_load_b128 v[43:46], v[22:23], off
	s_wait_loadcnt 0x0
	v_mul_f64_e32 v[22:23], v[45:46], v[20:21]
	v_mul_f64_e32 v[45:46], v[45:46], v[18:19]
	s_delay_alu instid0(VALU_DEP_2) | instskip(NEXT) | instid1(VALU_DEP_2)
	v_fma_f64 v[18:19], v[43:44], v[18:19], v[22:23]
	v_fma_f64 v[20:21], v[43:44], v[20:21], -v[45:46]
	s_delay_alu instid0(VALU_DEP_2) | instskip(NEXT) | instid1(VALU_DEP_2)
	v_add_f64_e32 v[0:1], v[0:1], v[18:19]
	v_add_f64_e32 v[2:3], v[2:3], v[20:21]
	s_branch .LBB2_10
.LBB2_37:                               ;   in Loop: Header=BB2_7 Depth=1
	s_or_b32 exec_lo, exec_lo, s48
.LBB2_38:                               ;   in Loop: Header=BB2_7 Depth=1
	s_wait_alu 0xfffe
	s_or_b32 exec_lo, exec_lo, s47
	ds_store_b128 v27, v[0:3]
	s_wait_dscnt 0x0
	s_barrier_signal -1
	s_barrier_wait -1
	global_inv scope:SCOPE_SE
.LBB2_39:                               ;   in Loop: Header=BB2_7 Depth=1
	s_and_saveexec_b32 s5, s3
	s_cbranch_execz .LBB2_6
; %bb.40:                               ;   in Loop: Header=BB2_7 Depth=1
	s_mul_u64 s[20:21], s[42:43], s[22:23]
	s_and_b32 vcc_lo, exec_lo, s35
	s_wait_alu 0xfffe
	s_lshl_b64 s[20:21], s[20:21], 4
	s_wait_alu 0xfffe
	s_add_nc_u64 s[20:21], s[24:25], s[20:21]
	s_cbranch_vccz .LBB2_46
; %bb.41:                               ;   in Loop: Header=BB2_7 Depth=1
	s_mov_b32 s48, 0
	s_mov_b32 s47, 0
                                        ; implicit-def: $vgpr2_vgpr3
	s_and_saveexec_b32 s49, s4
	s_wait_alu 0xfffe
	s_xor_b32 s49, exec_lo, s49
	s_cbranch_execz .LBB2_45
; %bb.42:                               ;   in Loop: Header=BB2_7 Depth=1
	v_mov_b32_e32 v2, 0
	v_dual_mov_b32 v3, 0 :: v_dual_mov_b32 v0, 0
	v_mov_b32_e32 v1, 0
	s_and_not1_b32 vcc_lo, exec_lo, s40
	s_wait_alu 0xfffe
	s_cbranch_vccnz .LBB2_44
; %bb.43:                               ;   in Loop: Header=BB2_7 Depth=1
	v_lshlrev_b64_e32 v[0:1], 4, v[10:11]
	s_delay_alu instid0(VALU_DEP_1) | instskip(SKIP_1) | instid1(VALU_DEP_2)
	v_add_co_u32 v0, vcc_lo, s20, v0
	s_wait_alu 0xfffd
	v_add_co_ci_u32_e64 v1, null, s21, v1, vcc_lo
	global_load_b128 v[2:5], v[0:1], off
	s_wait_loadcnt 0x0
	v_mul_f64_e32 v[0:1], s[38:39], v[4:5]
	v_mul_f64_e32 v[4:5], s[36:37], v[4:5]
	s_delay_alu instid0(VALU_DEP_2) | instskip(NEXT) | instid1(VALU_DEP_2)
	v_fma_f64 v[0:1], s[36:37], v[2:3], -v[0:1]
	v_fma_f64 v[2:3], s[38:39], v[2:3], v[4:5]
.LBB2_44:                               ;   in Loop: Header=BB2_7 Depth=1
	s_mov_b32 s47, exec_lo
.LBB2_45:                               ;   in Loop: Header=BB2_7 Depth=1
	s_wait_alu 0xfffe
	s_or_b32 exec_lo, exec_lo, s49
	s_delay_alu instid0(SALU_CYCLE_1)
	s_and_b32 vcc_lo, exec_lo, s48
	s_wait_alu 0xfffe
	s_cbranch_vccnz .LBB2_47
	s_branch .LBB2_52
.LBB2_46:                               ;   in Loop: Header=BB2_7 Depth=1
	s_mov_b32 s47, 0
                                        ; implicit-def: $vgpr2_vgpr3
	s_cbranch_execz .LBB2_52
.LBB2_47:                               ;   in Loop: Header=BB2_7 Depth=1
	ds_load_b128 v[0:3], v27
	ds_load_b128 v[4:7], v27 offset:1024
	s_wait_dscnt 0x0
	v_add_f64_e32 v[18:19], v[0:1], v[4:5]
	v_add_f64_e32 v[20:21], v[2:3], v[6:7]
	ds_load_b128 v[0:3], v27 offset:2048
	ds_load_b128 v[4:7], v27 offset:3072
	s_wait_dscnt 0x1
	v_add_f64_e32 v[0:1], v[18:19], v[0:1]
	v_add_f64_e32 v[2:3], v[20:21], v[2:3]
	s_wait_dscnt 0x0
	s_delay_alu instid0(VALU_DEP_2) | instskip(NEXT) | instid1(VALU_DEP_2)
	v_add_f64_e32 v[18:19], v[0:1], v[4:5]
	v_add_f64_e32 v[20:21], v[2:3], v[6:7]
	ds_load_b128 v[0:3], v27 offset:4096
	ds_load_b128 v[4:7], v27 offset:5120
	s_wait_dscnt 0x1
	v_add_f64_e32 v[0:1], v[18:19], v[0:1]
	v_add_f64_e32 v[2:3], v[20:21], v[2:3]
	s_wait_dscnt 0x0
	s_delay_alu instid0(VALU_DEP_2) | instskip(NEXT) | instid1(VALU_DEP_2)
	;; [unrolled: 9-line block ×7, first 2 shown]
	v_add_f64_e32 v[4:5], v[0:1], v[4:5]
	v_add_f64_e32 v[6:7], v[2:3], v[6:7]
                                        ; implicit-def: $vgpr2_vgpr3
	ds_store_b128 v27, v[4:7]
	s_and_saveexec_b32 s48, s4
	s_cbranch_execz .LBB2_51
; %bb.48:                               ;   in Loop: Header=BB2_7 Depth=1
	v_mul_f64_e32 v[0:1], s[30:31], v[6:7]
	v_mul_f64_e32 v[2:3], s[28:29], v[6:7]
	s_and_not1_b32 vcc_lo, exec_lo, s40
	s_delay_alu instid0(VALU_DEP_2) | instskip(NEXT) | instid1(VALU_DEP_2)
	v_fma_f64 v[0:1], s[28:29], v[4:5], -v[0:1]
	v_fma_f64 v[2:3], s[30:31], v[4:5], v[2:3]
	s_wait_alu 0xfffe
	s_cbranch_vccnz .LBB2_50
; %bb.49:                               ;   in Loop: Header=BB2_7 Depth=1
	v_lshlrev_b64_e32 v[4:5], 4, v[10:11]
	s_delay_alu instid0(VALU_DEP_1) | instskip(SKIP_1) | instid1(VALU_DEP_2)
	v_add_co_u32 v4, vcc_lo, s20, v4
	s_wait_alu 0xfffd
	v_add_co_ci_u32_e64 v5, null, s21, v5, vcc_lo
	global_load_b128 v[4:7], v[4:5], off
	s_wait_loadcnt 0x0
	v_mul_f64_e32 v[18:19], s[38:39], v[6:7]
	v_mul_f64_e32 v[6:7], s[36:37], v[6:7]
	s_delay_alu instid0(VALU_DEP_2) | instskip(NEXT) | instid1(VALU_DEP_2)
	v_fma_f64 v[18:19], s[36:37], v[4:5], -v[18:19]
	v_fma_f64 v[4:5], s[38:39], v[4:5], v[6:7]
	s_delay_alu instid0(VALU_DEP_2) | instskip(NEXT) | instid1(VALU_DEP_2)
	v_add_f64_e32 v[0:1], v[0:1], v[18:19]
	v_add_f64_e32 v[2:3], v[2:3], v[4:5]
.LBB2_50:                               ;   in Loop: Header=BB2_7 Depth=1
	s_or_b32 s47, s47, exec_lo
.LBB2_51:                               ;   in Loop: Header=BB2_7 Depth=1
	s_wait_alu 0xfffe
	s_or_b32 exec_lo, exec_lo, s48
.LBB2_52:                               ;   in Loop: Header=BB2_7 Depth=1
	s_wait_alu 0xfffe
	s_and_b32 exec_lo, exec_lo, s47
	s_cbranch_execz .LBB2_6
; %bb.53:                               ;   in Loop: Header=BB2_7 Depth=1
	v_lshlrev_b64_e32 v[4:5], 4, v[10:11]
	s_delay_alu instid0(VALU_DEP_1) | instskip(SKIP_1) | instid1(VALU_DEP_2)
	v_add_co_u32 v4, vcc_lo, s20, v4
	s_wait_alu 0xfffd
	v_add_co_ci_u32_e64 v5, null, s21, v5, vcc_lo
	global_store_b128 v[4:5], v[0:3], off
	s_branch .LBB2_6
.LBB2_54:
	s_endpgm
	.section	.rodata,"a",@progbits
	.p2align	6, 0x0
	.amdhsa_kernel _ZL20rocblas_hbmvn_kernelILi64ELi16EPK19rocblas_complex_numIdES3_PS1_EvbiiT1_T2_lllS6_lllS5_T3_llli
		.amdhsa_group_segment_fixed_size 16384
		.amdhsa_private_segment_fixed_size 0
		.amdhsa_kernarg_size 392
		.amdhsa_user_sgpr_count 2
		.amdhsa_user_sgpr_dispatch_ptr 0
		.amdhsa_user_sgpr_queue_ptr 0
		.amdhsa_user_sgpr_kernarg_segment_ptr 1
		.amdhsa_user_sgpr_dispatch_id 0
		.amdhsa_user_sgpr_private_segment_size 0
		.amdhsa_wavefront_size32 1
		.amdhsa_uses_dynamic_stack 0
		.amdhsa_enable_private_segment 0
		.amdhsa_system_sgpr_workgroup_id_x 1
		.amdhsa_system_sgpr_workgroup_id_y 0
		.amdhsa_system_sgpr_workgroup_id_z 1
		.amdhsa_system_sgpr_workgroup_info 0
		.amdhsa_system_vgpr_workitem_id 1
		.amdhsa_next_free_vgpr 47
		.amdhsa_next_free_sgpr 54
		.amdhsa_reserve_vcc 1
		.amdhsa_float_round_mode_32 0
		.amdhsa_float_round_mode_16_64 0
		.amdhsa_float_denorm_mode_32 3
		.amdhsa_float_denorm_mode_16_64 3
		.amdhsa_fp16_overflow 0
		.amdhsa_workgroup_processor_mode 1
		.amdhsa_memory_ordered 1
		.amdhsa_forward_progress 1
		.amdhsa_inst_pref_size 22
		.amdhsa_round_robin_scheduling 0
		.amdhsa_exception_fp_ieee_invalid_op 0
		.amdhsa_exception_fp_denorm_src 0
		.amdhsa_exception_fp_ieee_div_zero 0
		.amdhsa_exception_fp_ieee_overflow 0
		.amdhsa_exception_fp_ieee_underflow 0
		.amdhsa_exception_fp_ieee_inexact 0
		.amdhsa_exception_int_div_zero 0
	.end_amdhsa_kernel
	.section	.text._ZL20rocblas_hbmvn_kernelILi64ELi16EPK19rocblas_complex_numIdES3_PS1_EvbiiT1_T2_lllS6_lllS5_T3_llli,"axG",@progbits,_ZL20rocblas_hbmvn_kernelILi64ELi16EPK19rocblas_complex_numIdES3_PS1_EvbiiT1_T2_lllS6_lllS5_T3_llli,comdat
.Lfunc_end2:
	.size	_ZL20rocblas_hbmvn_kernelILi64ELi16EPK19rocblas_complex_numIdES3_PS1_EvbiiT1_T2_lllS6_lllS5_T3_llli, .Lfunc_end2-_ZL20rocblas_hbmvn_kernelILi64ELi16EPK19rocblas_complex_numIdES3_PS1_EvbiiT1_T2_lllS6_lllS5_T3_llli
                                        ; -- End function
	.set _ZL20rocblas_hbmvn_kernelILi64ELi16EPK19rocblas_complex_numIdES3_PS1_EvbiiT1_T2_lllS6_lllS5_T3_llli.num_vgpr, 47
	.set _ZL20rocblas_hbmvn_kernelILi64ELi16EPK19rocblas_complex_numIdES3_PS1_EvbiiT1_T2_lllS6_lllS5_T3_llli.num_agpr, 0
	.set _ZL20rocblas_hbmvn_kernelILi64ELi16EPK19rocblas_complex_numIdES3_PS1_EvbiiT1_T2_lllS6_lllS5_T3_llli.numbered_sgpr, 54
	.set _ZL20rocblas_hbmvn_kernelILi64ELi16EPK19rocblas_complex_numIdES3_PS1_EvbiiT1_T2_lllS6_lllS5_T3_llli.num_named_barrier, 0
	.set _ZL20rocblas_hbmvn_kernelILi64ELi16EPK19rocblas_complex_numIdES3_PS1_EvbiiT1_T2_lllS6_lllS5_T3_llli.private_seg_size, 0
	.set _ZL20rocblas_hbmvn_kernelILi64ELi16EPK19rocblas_complex_numIdES3_PS1_EvbiiT1_T2_lllS6_lllS5_T3_llli.uses_vcc, 1
	.set _ZL20rocblas_hbmvn_kernelILi64ELi16EPK19rocblas_complex_numIdES3_PS1_EvbiiT1_T2_lllS6_lllS5_T3_llli.uses_flat_scratch, 0
	.set _ZL20rocblas_hbmvn_kernelILi64ELi16EPK19rocblas_complex_numIdES3_PS1_EvbiiT1_T2_lllS6_lllS5_T3_llli.has_dyn_sized_stack, 0
	.set _ZL20rocblas_hbmvn_kernelILi64ELi16EPK19rocblas_complex_numIdES3_PS1_EvbiiT1_T2_lllS6_lllS5_T3_llli.has_recursion, 0
	.set _ZL20rocblas_hbmvn_kernelILi64ELi16EPK19rocblas_complex_numIdES3_PS1_EvbiiT1_T2_lllS6_lllS5_T3_llli.has_indirect_call, 0
	.section	.AMDGPU.csdata,"",@progbits
; Kernel info:
; codeLenInByte = 2808
; TotalNumSgprs: 56
; NumVgprs: 47
; ScratchSize: 0
; MemoryBound: 1
; FloatMode: 240
; IeeeMode: 1
; LDSByteSize: 16384 bytes/workgroup (compile time only)
; SGPRBlocks: 0
; VGPRBlocks: 5
; NumSGPRsForWavesPerEU: 56
; NumVGPRsForWavesPerEU: 47
; Occupancy: 16
; WaveLimiterHint : 0
; COMPUTE_PGM_RSRC2:SCRATCH_EN: 0
; COMPUTE_PGM_RSRC2:USER_SGPR: 2
; COMPUTE_PGM_RSRC2:TRAP_HANDLER: 0
; COMPUTE_PGM_RSRC2:TGID_X_EN: 1
; COMPUTE_PGM_RSRC2:TGID_Y_EN: 0
; COMPUTE_PGM_RSRC2:TGID_Z_EN: 1
; COMPUTE_PGM_RSRC2:TIDIG_COMP_CNT: 1
	.section	.text._ZL20rocblas_hbmvn_kernelILi64ELi16E19rocblas_complex_numIdEPKS1_PS1_EvbiiT1_T2_lllS6_lllS5_T3_llli,"axG",@progbits,_ZL20rocblas_hbmvn_kernelILi64ELi16E19rocblas_complex_numIdEPKS1_PS1_EvbiiT1_T2_lllS6_lllS5_T3_llli,comdat
	.globl	_ZL20rocblas_hbmvn_kernelILi64ELi16E19rocblas_complex_numIdEPKS1_PS1_EvbiiT1_T2_lllS6_lllS5_T3_llli ; -- Begin function _ZL20rocblas_hbmvn_kernelILi64ELi16E19rocblas_complex_numIdEPKS1_PS1_EvbiiT1_T2_lllS6_lllS5_T3_llli
	.p2align	8
	.type	_ZL20rocblas_hbmvn_kernelILi64ELi16E19rocblas_complex_numIdEPKS1_PS1_EvbiiT1_T2_lllS6_lllS5_T3_llli,@function
_ZL20rocblas_hbmvn_kernelILi64ELi16E19rocblas_complex_numIdEPKS1_PS1_EvbiiT1_T2_lllS6_lllS5_T3_llli: ; @_ZL20rocblas_hbmvn_kernelILi64ELi16E19rocblas_complex_numIdEPKS1_PS1_EvbiiT1_T2_lllS6_lllS5_T3_llli
; %bb.0:
	s_load_b64 s[2:3], s[0:1], 0xa4
	s_wait_kmcnt 0x0
	s_lshr_b32 s4, s2, 16
	s_and_b32 s2, s2, 0xffff
	s_and_b32 s3, s3, 0xffff
	s_mul_i32 s4, s4, s2
	s_delay_alu instid0(SALU_CYCLE_1) | instskip(NEXT) | instid1(SALU_CYCLE_1)
	s_mul_i32 s4, s4, s3
	s_cmp_lg_u32 s4, 0x400
	s_cbranch_scc1 .LBB3_54
; %bb.1:
	s_clause 0x1
	s_load_b512 s[8:23], s[0:1], 0x10
	s_load_b512 s[36:51], s[0:1], 0x50
	s_wait_kmcnt 0x0
	v_cmp_neq_f64_e64 s3, s[8:9], 0
	v_cmp_neq_f64_e64 s4, s[10:11], 0
	s_or_b32 s27, s3, s4
	s_mov_b32 s3, -1
	s_and_b32 vcc_lo, exec_lo, s27
	s_cbranch_vccnz .LBB3_3
; %bb.2:
	v_cmp_neq_f64_e64 s3, s[40:41], 1.0
	v_cmp_neq_f64_e64 s4, s[42:43], 0
	s_or_b32 s3, s3, s4
.LBB3_3:
	s_delay_alu instid0(SALU_CYCLE_1)
	s_and_not1_b32 vcc_lo, exec_lo, s3
	s_cbranch_vccnz .LBB3_54
; %bb.4:
	s_load_b32 s33, s[0:1], 0x90
	s_lshr_b32 s6, ttmp7, 16
	s_wait_kmcnt 0x0
	s_cmp_ge_u32 s6, s33
	s_cbranch_scc1 .LBB3_54
; %bb.5:
	v_and_b32_e32 v1, 0x3ff, v0
	v_bfe_u32 v0, v0, 10, 10
	s_load_b96 s[24:26], s[0:1], 0x0
	s_xor_b32 s52, s27, -1
	s_lshl_b64 s[14:15], s[14:15], 4
	s_lshl_b64 s[0:1], s[46:47], 4
	v_mad_u32_u24 v7, v0, s2, v1
	s_add_nc_u64 s[30:31], s[44:45], s[0:1]
	v_cmp_neq_f64_e64 s5, s[40:41], 0
	v_cmp_neq_f64_e64 s34, s[42:43], 0
	s_add_nc_u64 s[28:29], s[12:13], s[14:15]
	v_lshrrev_b32_e32 v24, 6, v7
	v_lshlrev_b32_e32 v27, 4, v7
	v_cmp_gt_u32_e64 s3, 64, v7
	s_mov_b32 s7, 0
	v_mad_co_u64_u32 v[0:1], null, s36, v24, 0
	v_mad_co_u64_u32 v[2:3], null, s16, v24, 0
	s_wait_kmcnt 0x0
	s_bitcmp1_b32 s24, 0
	v_cmp_gt_i32_e64 s1, s25, v24
	s_cselect_b32 s0, -1, 0
	v_mad_co_u64_u32 v[4:5], null, s37, v24, v[1:2]
	v_and_b32_e32 v12, 63, v7
	s_and_b32 s2, s0, exec_lo
	s_cselect_b32 s35, s26, 0
	s_lshl_b32 s45, ttmp9, 6
	s_xor_b32 s24, s0, -1
	v_or_b32_e32 v8, s45, v12
	v_add3_u32 v6, s26, s45, v12
	s_cmp_eq_u32 s26, 0
	v_add_nc_u32_e32 v13, s45, v7
	s_cselect_b32 s46, -1, 0
	v_ashrrev_i32_e32 v9, 31, v8
	v_mul_lo_u32 v1, s17, v8
	v_sub_nc_u32_e32 v25, v6, v24
	v_mad_co_u64_u32 v[5:6], null, s16, v8, 0
	s_delay_alu instid0(VALU_DEP_4)
	v_mul_lo_u32 v11, s16, v9
	s_lshl_b64 s[22:23], s[22:23], 4
	v_sub_nc_u32_e32 v10, v8, v24
	s_add_nc_u64 s[20:21], s[20:21], s[22:23]
	s_or_b32 s44, s5, s34
	v_ashrrev_i32_e32 v14, 31, v13
	v_mul_lo_u32 v15, s49, v13
	v_cndmask_b32_e64 v26, v10, v25, s0
	v_add3_u32 v6, v6, v11, v1
	v_mov_b32_e32 v1, v4
	v_mad_co_u64_u32 v[3:4], null, s17, v24, v[3:4]
	v_mad_co_u64_u32 v[10:11], null, s48, v13, 0
	s_delay_alu instid0(VALU_DEP_3)
	v_lshlrev_b64_e32 v[0:1], 4, v[0:1]
	v_cmp_gt_i32_e64 s4, s25, v13
	v_mul_lo_u32 v14, s48, v14
	v_lshlrev_b64_e32 v[16:17], 4, v[5:6]
	v_lshlrev_b64_e32 v[2:3], 4, v[2:3]
	v_cmp_gt_i32_e64 s2, s25, v8
	v_add_co_u32 v4, vcc_lo, s20, v0
	s_delay_alu instid0(VALU_DEP_1)
	v_add_co_ci_u32_e64 v7, null, s21, v1, vcc_lo
	v_lshlrev_b64_e32 v[0:1], 4, v[8:9]
	s_lshl_b64 s[20:21], s[16:17], 4
	v_sub_nc_u32_e32 v9, s35, v12
	s_wait_alu 0xfffe
	s_add_nc_u64 s[34:35], s[20:21], -16
	v_add_co_u32 v12, vcc_lo, v4, 8
	s_wait_alu 0xfffe
	v_mad_co_u64_u32 v[0:1], null, v24, s34, v[0:1]
	s_wait_alu 0xfffd
	v_add_co_ci_u32_e64 v13, null, 0, v7, vcc_lo
	v_add_co_u32 v28, vcc_lo, s12, v2
	s_wait_alu 0xfffd
	v_add_co_ci_u32_e64 v29, null, s13, v3, vcc_lo
	s_delay_alu instid0(VALU_DEP_4) | instskip(NEXT) | instid1(VALU_DEP_3)
	v_mad_co_u64_u32 v[1:2], null, v24, s35, v[1:2]
	v_add_co_u32 v30, vcc_lo, v28, 8
	s_wait_alu 0xfffd
	s_delay_alu instid0(VALU_DEP_3) | instskip(SKIP_2) | instid1(VALU_DEP_4)
	v_add_co_ci_u32_e64 v31, null, 0, v29, vcc_lo
	v_add_co_u32 v0, vcc_lo, s12, v0
	s_wait_alu 0xfffd
	v_add_co_ci_u32_e64 v1, null, s13, v1, vcc_lo
	v_add3_u32 v11, v11, v14, v15
	s_delay_alu instid0(VALU_DEP_3)
	v_add_co_u32 v32, vcc_lo, v0, 8
	v_subrev_nc_u32_e32 v9, s45, v9
	v_mov_b32_e32 v15, 0
	s_wait_alu 0xfffd
	v_add_co_ci_u32_e64 v33, null, 0, v1, vcc_lo
	s_movk_i32 s34, 0xff00
	s_lshl_b64 s[12:13], s[16:17], 8
	s_mov_b32 s35, -1
	s_lshl_b64 s[20:21], s[38:39], 4
	s_lshl_b64 s[22:23], s[36:37], 8
	s_or_b32 s38, s24, s46
	s_lshl_b64 s[16:17], s[18:19], 4
	s_wait_alu 0xfffe
	s_add_nc_u64 s[34:35], s[12:13], s[34:35]
	s_branch .LBB3_7
.LBB3_6:                                ;   in Loop: Header=BB3_7 Depth=1
	s_wait_alu 0xfffe
	s_or_b32 exec_lo, exec_lo, s5
	s_add_co_i32 s6, s6, 0x10000
	s_wait_alu 0xfffe
	s_cmp_lt_u32 s6, s33
	s_cbranch_scc0 .LBB3_54
.LBB3_7:                                ; =>This Loop Header: Depth=1
                                        ;     Child Loop BB3_13 Depth 2
	s_and_not1_b32 vcc_lo, exec_lo, s27
	s_wait_alu 0xfffe
	s_cbranch_vccnz .LBB3_39
; %bb.8:                                ;   in Loop: Header=BB3_7 Depth=1
	v_mov_b32_e32 v2, 0
	v_dual_mov_b32 v3, 0 :: v_dual_mov_b32 v0, 0
	v_mov_b32_e32 v1, 0
	s_and_saveexec_b32 s39, s1
	s_cbranch_execz .LBB3_38
; %bb.9:                                ;   in Loop: Header=BB3_7 Depth=1
	v_mad_co_u64_u32 v[4:5], null, s20, s6, v[12:13]
	s_mul_u64 s[36:37], s[16:17], s[6:7]
	v_mov_b32_e32 v2, 0
	s_wait_alu 0xfffe
	v_add_co_u32 v34, vcc_lo, v30, s36
	s_mul_u64 s[46:47], s[18:19], s[6:7]
	s_wait_alu 0xfffd
	v_add_co_ci_u32_e64 v35, null, s37, v31, vcc_lo
	v_dual_mov_b32 v0, v5 :: v_dual_mov_b32 v3, 0
	v_add_co_u32 v36, vcc_lo, v28, s36
	s_wait_alu 0xfffd
	v_add_co_ci_u32_e64 v37, null, s37, v29, vcc_lo
	s_delay_alu instid0(VALU_DEP_3)
	v_mad_co_u64_u32 v[0:1], null, s21, s6, v[0:1]
	s_lshl_b64 s[46:47], s[46:47], 4
	v_add_co_u32 v38, vcc_lo, v32, s36
	s_wait_alu 0xfffd
	v_add_co_ci_u32_e64 v39, null, s37, v33, vcc_lo
	s_add_nc_u64 s[36:37], s[28:29], s[46:47]
	v_dual_mov_b32 v5, v0 :: v_dual_mov_b32 v6, v25
	s_wait_alu 0xfffe
	v_add_co_u32 v40, vcc_lo, s36, v16
	v_mov_b32_e32 v0, 0
	s_wait_alu 0xfffd
	v_add_co_ci_u32_e64 v41, null, s37, v17, vcc_lo
	v_dual_mov_b32 v1, 0 :: v_dual_mov_b32 v42, v24
	s_mov_b64 s[36:37], 0
	s_mov_b32 s45, 0
	s_branch .LBB3_13
.LBB3_10:                               ;   in Loop: Header=BB3_13 Depth=2
	s_wait_alu 0xfffe
	s_or_b32 exec_lo, exec_lo, s5
.LBB3_11:                               ;   in Loop: Header=BB3_13 Depth=2
	s_delay_alu instid0(SALU_CYCLE_1)
	s_or_b32 exec_lo, exec_lo, s47
.LBB3_12:                               ;   in Loop: Header=BB3_13 Depth=2
	s_delay_alu instid0(SALU_CYCLE_1)
	s_or_b32 exec_lo, exec_lo, s46
	v_add_co_u32 v4, vcc_lo, v4, s22
	v_add_nc_u32_e32 v42, 16, v42
	s_wait_alu 0xfffd
	v_add_co_ci_u32_e64 v5, null, s23, v5, vcc_lo
	v_add_co_u32 v34, vcc_lo, v34, s12
	s_wait_alu 0xfffd
	v_add_co_ci_u32_e64 v35, null, s13, v35, vcc_lo
	v_add_co_u32 v36, vcc_lo, v36, s12
	s_wait_alu 0xfffd
	v_add_co_ci_u32_e64 v37, null, s13, v37, vcc_lo
	v_cmp_le_i32_e32 vcc_lo, s25, v42
	v_add_co_u32 v38, s5, v38, s34
	v_add_nc_u32_e32 v6, -16, v6
	s_wait_alu 0xf1ff
	v_add_co_ci_u32_e64 v39, null, s35, v39, s5
	s_wait_alu 0xfffe
	s_or_b32 s45, vcc_lo, s45
	s_add_nc_u64 s[36:37], s[36:37], -16
	s_wait_alu 0xfffe
	s_and_not1_b32 exec_lo, exec_lo, s45
	s_cbranch_execz .LBB3_37
.LBB3_13:                               ;   Parent Loop BB3_7 Depth=1
                                        ; =>  This Inner Loop Header: Depth=2
	s_and_saveexec_b32 s46, s2
	s_cbranch_execz .LBB3_12
; %bb.14:                               ;   in Loop: Header=BB3_13 Depth=2
	v_cmp_gt_i32_e32 vcc_lo, v8, v42
	s_wait_alu 0xfffd
	v_cndmask_b32_e64 v7, 0, 1, vcc_lo
	v_cmp_lt_i32_e32 vcc_lo, v8, v42
	s_wait_alu 0xfffd
	v_cndmask_b32_e64 v14, 0, 1, vcc_lo
	s_delay_alu instid0(VALU_DEP_1) | instskip(NEXT) | instid1(VALU_DEP_1)
	v_cndmask_b32_e64 v7, v14, v7, s0
	v_and_b32_e32 v7, 1, v7
	s_delay_alu instid0(VALU_DEP_1) | instskip(SKIP_3) | instid1(SALU_CYCLE_1)
	v_cmp_eq_u32_e32 vcc_lo, 1, v7
	s_xor_b32 s5, vcc_lo, -1
	s_wait_alu 0xfffe
	s_and_saveexec_b32 s47, s5
	s_xor_b32 s47, exec_lo, s47
	s_cbranch_execz .LBB3_34
; %bb.15:                               ;   in Loop: Header=BB3_13 Depth=2
	v_add_nc_u32_e32 v14, s36, v26
	s_delay_alu instid0(VALU_DEP_1)
	v_cmp_le_i32_e32 vcc_lo, s26, v14
	v_cmp_gt_i32_e64 s5, 1, v14
	s_or_b32 s5, vcc_lo, s5
	s_wait_alu 0xfffe
	s_and_saveexec_b32 s48, s5
	s_wait_alu 0xfffe
	s_xor_b32 s5, exec_lo, s48
	s_cbranch_execz .LBB3_31
; %bb.16:                               ;   in Loop: Header=BB3_13 Depth=2
	s_mov_b32 s48, exec_lo
	v_cmpx_ne_u32_e32 0, v14
	s_wait_alu 0xfffe
	s_xor_b32 s48, exec_lo, s48
	s_cbranch_execz .LBB3_24
; %bb.17:                               ;   in Loop: Header=BB3_13 Depth=2
	s_mov_b32 s49, exec_lo
	v_cmpx_eq_u32_e64 s26, v14
	s_cbranch_execz .LBB3_23
; %bb.18:                               ;   in Loop: Header=BB3_13 Depth=2
	s_and_b32 vcc_lo, exec_lo, s24
	s_mov_b32 s53, -1
                                        ; implicit-def: $vgpr20_vgpr21
                                        ; implicit-def: $vgpr18_vgpr19
	s_wait_alu 0xfffe
	s_cbranch_vccz .LBB3_20
; %bb.19:                               ;   in Loop: Header=BB3_13 Depth=2
	v_add_co_u32 v22, vcc_lo, v38, s14
	s_wait_alu 0xfffd
	v_add_co_ci_u32_e64 v23, null, s15, v39, vcc_lo
	s_mov_b32 s53, 0
	global_load_b128 v[18:21], v[4:5], off offset:-8
	global_load_b128 v[43:46], v[22:23], off offset:-8
	s_wait_loadcnt 0x0
	v_mul_f64_e32 v[22:23], v[20:21], v[45:46]
	v_mul_f64_e32 v[45:46], v[18:19], v[45:46]
	s_delay_alu instid0(VALU_DEP_2) | instskip(NEXT) | instid1(VALU_DEP_2)
	v_fma_f64 v[18:19], v[18:19], v[43:44], -v[22:23]
	v_fma_f64 v[20:21], v[20:21], v[43:44], v[45:46]
	s_delay_alu instid0(VALU_DEP_2) | instskip(NEXT) | instid1(VALU_DEP_2)
	v_add_f64_e32 v[18:19], v[0:1], v[18:19]
	v_add_f64_e32 v[20:21], v[2:3], v[20:21]
.LBB3_20:                               ;   in Loop: Header=BB3_13 Depth=2
	s_and_not1_b32 vcc_lo, exec_lo, s53
	s_wait_alu 0xfffe
	s_cbranch_vccnz .LBB3_22
; %bb.21:                               ;   in Loop: Header=BB3_13 Depth=2
	v_ashrrev_i32_e32 v7, 31, v6
	s_delay_alu instid0(VALU_DEP_1) | instskip(NEXT) | instid1(VALU_DEP_1)
	v_lshlrev_b64_e32 v[18:19], 4, v[6:7]
	v_add_co_u32 v7, vcc_lo, v36, v18
	s_wait_alu 0xfffd
	s_delay_alu instid0(VALU_DEP_2) | instskip(NEXT) | instid1(VALU_DEP_2)
	v_add_co_ci_u32_e64 v14, null, v37, v19, vcc_lo
	v_add_co_u32 v22, vcc_lo, v7, s14
	s_wait_alu 0xfffd
	s_delay_alu instid0(VALU_DEP_2)
	v_add_co_ci_u32_e64 v23, null, s15, v14, vcc_lo
	global_load_b128 v[18:21], v[4:5], off offset:-8
	global_load_b64 v[22:23], v[22:23], off
	s_wait_loadcnt 0x0
	v_fma_f64 v[18:19], v[22:23], v[18:19], v[0:1]
	v_fma_f64 v[20:21], v[22:23], v[20:21], v[2:3]
.LBB3_22:                               ;   in Loop: Header=BB3_13 Depth=2
	s_delay_alu instid0(VALU_DEP_1) | instskip(NEXT) | instid1(VALU_DEP_3)
	v_dual_mov_b32 v2, v20 :: v_dual_mov_b32 v3, v21
	v_dual_mov_b32 v0, v18 :: v_dual_mov_b32 v1, v19
.LBB3_23:                               ;   in Loop: Header=BB3_13 Depth=2
	s_wait_alu 0xfffe
	s_or_b32 exec_lo, exec_lo, s49
.LBB3_24:                               ;   in Loop: Header=BB3_13 Depth=2
	s_wait_alu 0xfffe
	s_and_not1_saveexec_b32 s48, s48
	s_cbranch_execz .LBB3_30
; %bb.25:                               ;   in Loop: Header=BB3_13 Depth=2
	v_add_co_u32 v18, vcc_lo, v34, s14
	s_wait_alu 0xfffd
	v_add_co_ci_u32_e64 v19, null, s15, v35, vcc_lo
	s_and_not1_b32 vcc_lo, exec_lo, s38
	s_mov_b32 s49, -1
                                        ; implicit-def: $vgpr22_vgpr23
                                        ; implicit-def: $vgpr20_vgpr21
	s_wait_alu 0xfffe
	s_cbranch_vccnz .LBB3_27
; %bb.26:                               ;   in Loop: Header=BB3_13 Depth=2
	global_load_b64 v[43:44], v[18:19], off offset:-8
	global_load_b128 v[20:23], v[4:5], off offset:-8
	s_mov_b32 s49, 0
	s_wait_loadcnt 0x0
	v_fma_f64 v[20:21], v[43:44], v[20:21], v[0:1]
	v_fma_f64 v[22:23], v[43:44], v[22:23], v[2:3]
.LBB3_27:                               ;   in Loop: Header=BB3_13 Depth=2
	s_wait_alu 0xfffe
	s_and_not1_b32 vcc_lo, exec_lo, s49
	s_wait_alu 0xfffe
	s_cbranch_vccnz .LBB3_29
; %bb.28:                               ;   in Loop: Header=BB3_13 Depth=2
	global_load_b128 v[20:23], v[4:5], off offset:-8
	global_load_b128 v[43:46], v[18:19], off offset:-8
	s_wait_loadcnt 0x0
	v_mul_f64_e32 v[18:19], v[22:23], v[45:46]
	v_mul_f64_e32 v[45:46], v[20:21], v[45:46]
	s_delay_alu instid0(VALU_DEP_2) | instskip(NEXT) | instid1(VALU_DEP_2)
	v_fma_f64 v[18:19], v[20:21], v[43:44], -v[18:19]
	v_fma_f64 v[22:23], v[22:23], v[43:44], v[45:46]
	s_delay_alu instid0(VALU_DEP_2) | instskip(NEXT) | instid1(VALU_DEP_2)
	v_add_f64_e32 v[20:21], v[0:1], v[18:19]
	v_add_f64_e32 v[22:23], v[2:3], v[22:23]
.LBB3_29:                               ;   in Loop: Header=BB3_13 Depth=2
	s_delay_alu instid0(VALU_DEP_1) | instskip(NEXT) | instid1(VALU_DEP_3)
	v_dual_mov_b32 v2, v22 :: v_dual_mov_b32 v3, v23
	v_dual_mov_b32 v0, v20 :: v_dual_mov_b32 v1, v21
.LBB3_30:                               ;   in Loop: Header=BB3_13 Depth=2
	s_wait_alu 0xfffe
	s_or_b32 exec_lo, exec_lo, s48
.LBB3_31:                               ;   in Loop: Header=BB3_13 Depth=2
	s_wait_alu 0xfffe
	s_and_not1_saveexec_b32 s5, s5
	s_cbranch_execz .LBB3_33
; %bb.32:                               ;   in Loop: Header=BB3_13 Depth=2
	v_lshlrev_b64_e32 v[18:19], 4, v[14:15]
	v_add_co_u32 v7, vcc_lo, v34, s14
	s_wait_alu 0xfffd
	v_add_co_ci_u32_e64 v14, null, s15, v35, vcc_lo
	s_delay_alu instid0(VALU_DEP_2) | instskip(SKIP_1) | instid1(VALU_DEP_2)
	v_add_co_u32 v22, vcc_lo, v7, v18
	s_wait_alu 0xfffd
	v_add_co_ci_u32_e64 v23, null, v14, v19, vcc_lo
	global_load_b128 v[18:21], v[4:5], off offset:-8
	global_load_b128 v[43:46], v[22:23], off offset:-8
	s_wait_loadcnt 0x0
	v_mul_f64_e32 v[22:23], v[20:21], v[45:46]
	v_mul_f64_e32 v[45:46], v[18:19], v[45:46]
	s_delay_alu instid0(VALU_DEP_2) | instskip(NEXT) | instid1(VALU_DEP_2)
	v_fma_f64 v[18:19], v[18:19], v[43:44], -v[22:23]
	v_fma_f64 v[20:21], v[20:21], v[43:44], v[45:46]
	s_delay_alu instid0(VALU_DEP_2) | instskip(NEXT) | instid1(VALU_DEP_2)
	v_add_f64_e32 v[0:1], v[0:1], v[18:19]
	v_add_f64_e32 v[2:3], v[2:3], v[20:21]
.LBB3_33:                               ;   in Loop: Header=BB3_13 Depth=2
	s_wait_alu 0xfffe
	s_or_b32 exec_lo, exec_lo, s5
.LBB3_34:                               ;   in Loop: Header=BB3_13 Depth=2
	s_and_not1_saveexec_b32 s47, s47
	s_cbranch_execz .LBB3_11
; %bb.35:                               ;   in Loop: Header=BB3_13 Depth=2
	v_add_nc_u32_e32 v14, v9, v42
	s_delay_alu instid0(VALU_DEP_1)
	v_cmp_ge_i32_e32 vcc_lo, s26, v14
	v_cmp_lt_i32_e64 s5, -1, v14
	s_and_b32 s48, vcc_lo, s5
	s_wait_alu 0xfffe
	s_and_saveexec_b32 s5, s48
	s_cbranch_execz .LBB3_10
; %bb.36:                               ;   in Loop: Header=BB3_13 Depth=2
	v_lshlrev_b64_e32 v[18:19], 4, v[14:15]
	s_delay_alu instid0(VALU_DEP_1) | instskip(SKIP_1) | instid1(VALU_DEP_2)
	v_add_co_u32 v22, vcc_lo, v40, v18
	s_wait_alu 0xfffd
	v_add_co_ci_u32_e64 v23, null, v41, v19, vcc_lo
	global_load_b128 v[18:21], v[4:5], off offset:-8
	global_load_b128 v[43:46], v[22:23], off
	s_wait_loadcnt 0x0
	v_mul_f64_e32 v[22:23], v[45:46], v[20:21]
	v_mul_f64_e32 v[45:46], v[45:46], v[18:19]
	s_delay_alu instid0(VALU_DEP_2) | instskip(NEXT) | instid1(VALU_DEP_2)
	v_fma_f64 v[18:19], v[43:44], v[18:19], v[22:23]
	v_fma_f64 v[20:21], v[43:44], v[20:21], -v[45:46]
	s_delay_alu instid0(VALU_DEP_2) | instskip(NEXT) | instid1(VALU_DEP_2)
	v_add_f64_e32 v[0:1], v[0:1], v[18:19]
	v_add_f64_e32 v[2:3], v[2:3], v[20:21]
	s_branch .LBB3_10
.LBB3_37:                               ;   in Loop: Header=BB3_7 Depth=1
	s_or_b32 exec_lo, exec_lo, s45
.LBB3_38:                               ;   in Loop: Header=BB3_7 Depth=1
	s_delay_alu instid0(SALU_CYCLE_1)
	s_or_b32 exec_lo, exec_lo, s39
	ds_store_b128 v27, v[0:3]
	s_wait_dscnt 0x0
	s_barrier_signal -1
	s_barrier_wait -1
	global_inv scope:SCOPE_SE
.LBB3_39:                               ;   in Loop: Header=BB3_7 Depth=1
	s_and_saveexec_b32 s5, s3
	s_cbranch_execz .LBB3_6
; %bb.40:                               ;   in Loop: Header=BB3_7 Depth=1
	s_mul_u64 s[36:37], s[50:51], s[6:7]
	s_and_b32 vcc_lo, exec_lo, s52
	s_wait_alu 0xfffe
	s_lshl_b64 s[36:37], s[36:37], 4
	s_wait_alu 0xfffe
	s_add_nc_u64 s[36:37], s[30:31], s[36:37]
	s_cbranch_vccz .LBB3_46
; %bb.41:                               ;   in Loop: Header=BB3_7 Depth=1
	s_mov_b32 s45, 0
	s_mov_b32 s39, 0
                                        ; implicit-def: $vgpr2_vgpr3
	s_and_saveexec_b32 s46, s4
	s_delay_alu instid0(SALU_CYCLE_1)
	s_xor_b32 s46, exec_lo, s46
	s_cbranch_execz .LBB3_45
; %bb.42:                               ;   in Loop: Header=BB3_7 Depth=1
	v_mov_b32_e32 v2, 0
	v_dual_mov_b32 v3, 0 :: v_dual_mov_b32 v0, 0
	v_mov_b32_e32 v1, 0
	s_and_not1_b32 vcc_lo, exec_lo, s44
	s_wait_alu 0xfffe
	s_cbranch_vccnz .LBB3_44
; %bb.43:                               ;   in Loop: Header=BB3_7 Depth=1
	v_lshlrev_b64_e32 v[0:1], 4, v[10:11]
	s_delay_alu instid0(VALU_DEP_1) | instskip(SKIP_1) | instid1(VALU_DEP_2)
	v_add_co_u32 v0, vcc_lo, s36, v0
	s_wait_alu 0xfffd
	v_add_co_ci_u32_e64 v1, null, s37, v1, vcc_lo
	global_load_b128 v[2:5], v[0:1], off
	s_wait_loadcnt 0x0
	v_mul_f64_e32 v[0:1], s[42:43], v[4:5]
	v_mul_f64_e32 v[4:5], s[40:41], v[4:5]
	s_delay_alu instid0(VALU_DEP_2) | instskip(NEXT) | instid1(VALU_DEP_2)
	v_fma_f64 v[0:1], s[40:41], v[2:3], -v[0:1]
	v_fma_f64 v[2:3], s[42:43], v[2:3], v[4:5]
.LBB3_44:                               ;   in Loop: Header=BB3_7 Depth=1
	s_mov_b32 s39, exec_lo
.LBB3_45:                               ;   in Loop: Header=BB3_7 Depth=1
	s_or_b32 exec_lo, exec_lo, s46
	s_wait_alu 0xfffe
	s_and_b32 vcc_lo, exec_lo, s45
	s_wait_alu 0xfffe
	s_cbranch_vccnz .LBB3_47
	s_branch .LBB3_52
.LBB3_46:                               ;   in Loop: Header=BB3_7 Depth=1
	s_mov_b32 s39, 0
                                        ; implicit-def: $vgpr2_vgpr3
	s_cbranch_execz .LBB3_52
.LBB3_47:                               ;   in Loop: Header=BB3_7 Depth=1
	ds_load_b128 v[0:3], v27
	ds_load_b128 v[4:7], v27 offset:1024
	s_wait_dscnt 0x0
	v_add_f64_e32 v[18:19], v[0:1], v[4:5]
	v_add_f64_e32 v[20:21], v[2:3], v[6:7]
	ds_load_b128 v[0:3], v27 offset:2048
	ds_load_b128 v[4:7], v27 offset:3072
	s_wait_dscnt 0x1
	v_add_f64_e32 v[0:1], v[18:19], v[0:1]
	v_add_f64_e32 v[2:3], v[20:21], v[2:3]
	s_wait_dscnt 0x0
	s_delay_alu instid0(VALU_DEP_2) | instskip(NEXT) | instid1(VALU_DEP_2)
	v_add_f64_e32 v[18:19], v[0:1], v[4:5]
	v_add_f64_e32 v[20:21], v[2:3], v[6:7]
	ds_load_b128 v[0:3], v27 offset:4096
	ds_load_b128 v[4:7], v27 offset:5120
	s_wait_dscnt 0x1
	v_add_f64_e32 v[0:1], v[18:19], v[0:1]
	v_add_f64_e32 v[2:3], v[20:21], v[2:3]
	s_wait_dscnt 0x0
	s_delay_alu instid0(VALU_DEP_2) | instskip(NEXT) | instid1(VALU_DEP_2)
	;; [unrolled: 9-line block ×7, first 2 shown]
	v_add_f64_e32 v[4:5], v[0:1], v[4:5]
	v_add_f64_e32 v[6:7], v[2:3], v[6:7]
                                        ; implicit-def: $vgpr2_vgpr3
	ds_store_b128 v27, v[4:7]
	s_and_saveexec_b32 s45, s4
	s_cbranch_execz .LBB3_51
; %bb.48:                               ;   in Loop: Header=BB3_7 Depth=1
	v_mul_f64_e32 v[0:1], s[10:11], v[6:7]
	v_mul_f64_e32 v[2:3], s[8:9], v[6:7]
	s_and_not1_b32 vcc_lo, exec_lo, s44
	s_delay_alu instid0(VALU_DEP_2) | instskip(NEXT) | instid1(VALU_DEP_2)
	v_fma_f64 v[0:1], s[8:9], v[4:5], -v[0:1]
	v_fma_f64 v[2:3], s[10:11], v[4:5], v[2:3]
	s_wait_alu 0xfffe
	s_cbranch_vccnz .LBB3_50
; %bb.49:                               ;   in Loop: Header=BB3_7 Depth=1
	v_lshlrev_b64_e32 v[4:5], 4, v[10:11]
	s_delay_alu instid0(VALU_DEP_1) | instskip(SKIP_1) | instid1(VALU_DEP_2)
	v_add_co_u32 v4, vcc_lo, s36, v4
	s_wait_alu 0xfffd
	v_add_co_ci_u32_e64 v5, null, s37, v5, vcc_lo
	global_load_b128 v[4:7], v[4:5], off
	s_wait_loadcnt 0x0
	v_mul_f64_e32 v[18:19], s[42:43], v[6:7]
	v_mul_f64_e32 v[6:7], s[40:41], v[6:7]
	s_delay_alu instid0(VALU_DEP_2) | instskip(NEXT) | instid1(VALU_DEP_2)
	v_fma_f64 v[18:19], s[40:41], v[4:5], -v[18:19]
	v_fma_f64 v[4:5], s[42:43], v[4:5], v[6:7]
	s_delay_alu instid0(VALU_DEP_2) | instskip(NEXT) | instid1(VALU_DEP_2)
	v_add_f64_e32 v[0:1], v[0:1], v[18:19]
	v_add_f64_e32 v[2:3], v[2:3], v[4:5]
.LBB3_50:                               ;   in Loop: Header=BB3_7 Depth=1
	s_or_b32 s39, s39, exec_lo
.LBB3_51:                               ;   in Loop: Header=BB3_7 Depth=1
	s_wait_alu 0xfffe
	s_or_b32 exec_lo, exec_lo, s45
.LBB3_52:                               ;   in Loop: Header=BB3_7 Depth=1
	s_delay_alu instid0(SALU_CYCLE_1)
	s_and_b32 exec_lo, exec_lo, s39
	s_cbranch_execz .LBB3_6
; %bb.53:                               ;   in Loop: Header=BB3_7 Depth=1
	v_lshlrev_b64_e32 v[4:5], 4, v[10:11]
	s_wait_alu 0xfffe
	s_delay_alu instid0(VALU_DEP_1) | instskip(SKIP_1) | instid1(VALU_DEP_2)
	v_add_co_u32 v4, vcc_lo, s36, v4
	s_wait_alu 0xfffd
	v_add_co_ci_u32_e64 v5, null, s37, v5, vcc_lo
	global_store_b128 v[4:5], v[0:3], off
	s_branch .LBB3_6
.LBB3_54:
	s_endpgm
	.section	.rodata,"a",@progbits
	.p2align	6, 0x0
	.amdhsa_kernel _ZL20rocblas_hbmvn_kernelILi64ELi16E19rocblas_complex_numIdEPKS1_PS1_EvbiiT1_T2_lllS6_lllS5_T3_llli
		.amdhsa_group_segment_fixed_size 16384
		.amdhsa_private_segment_fixed_size 0
		.amdhsa_kernarg_size 408
		.amdhsa_user_sgpr_count 2
		.amdhsa_user_sgpr_dispatch_ptr 0
		.amdhsa_user_sgpr_queue_ptr 0
		.amdhsa_user_sgpr_kernarg_segment_ptr 1
		.amdhsa_user_sgpr_dispatch_id 0
		.amdhsa_user_sgpr_private_segment_size 0
		.amdhsa_wavefront_size32 1
		.amdhsa_uses_dynamic_stack 0
		.amdhsa_enable_private_segment 0
		.amdhsa_system_sgpr_workgroup_id_x 1
		.amdhsa_system_sgpr_workgroup_id_y 0
		.amdhsa_system_sgpr_workgroup_id_z 1
		.amdhsa_system_sgpr_workgroup_info 0
		.amdhsa_system_vgpr_workitem_id 1
		.amdhsa_next_free_vgpr 47
		.amdhsa_next_free_sgpr 54
		.amdhsa_reserve_vcc 1
		.amdhsa_float_round_mode_32 0
		.amdhsa_float_round_mode_16_64 0
		.amdhsa_float_denorm_mode_32 3
		.amdhsa_float_denorm_mode_16_64 3
		.amdhsa_fp16_overflow 0
		.amdhsa_workgroup_processor_mode 1
		.amdhsa_memory_ordered 1
		.amdhsa_forward_progress 1
		.amdhsa_inst_pref_size 22
		.amdhsa_round_robin_scheduling 0
		.amdhsa_exception_fp_ieee_invalid_op 0
		.amdhsa_exception_fp_denorm_src 0
		.amdhsa_exception_fp_ieee_div_zero 0
		.amdhsa_exception_fp_ieee_overflow 0
		.amdhsa_exception_fp_ieee_underflow 0
		.amdhsa_exception_fp_ieee_inexact 0
		.amdhsa_exception_int_div_zero 0
	.end_amdhsa_kernel
	.section	.text._ZL20rocblas_hbmvn_kernelILi64ELi16E19rocblas_complex_numIdEPKS1_PS1_EvbiiT1_T2_lllS6_lllS5_T3_llli,"axG",@progbits,_ZL20rocblas_hbmvn_kernelILi64ELi16E19rocblas_complex_numIdEPKS1_PS1_EvbiiT1_T2_lllS6_lllS5_T3_llli,comdat
.Lfunc_end3:
	.size	_ZL20rocblas_hbmvn_kernelILi64ELi16E19rocblas_complex_numIdEPKS1_PS1_EvbiiT1_T2_lllS6_lllS5_T3_llli, .Lfunc_end3-_ZL20rocblas_hbmvn_kernelILi64ELi16E19rocblas_complex_numIdEPKS1_PS1_EvbiiT1_T2_lllS6_lllS5_T3_llli
                                        ; -- End function
	.set _ZL20rocblas_hbmvn_kernelILi64ELi16E19rocblas_complex_numIdEPKS1_PS1_EvbiiT1_T2_lllS6_lllS5_T3_llli.num_vgpr, 47
	.set _ZL20rocblas_hbmvn_kernelILi64ELi16E19rocblas_complex_numIdEPKS1_PS1_EvbiiT1_T2_lllS6_lllS5_T3_llli.num_agpr, 0
	.set _ZL20rocblas_hbmvn_kernelILi64ELi16E19rocblas_complex_numIdEPKS1_PS1_EvbiiT1_T2_lllS6_lllS5_T3_llli.numbered_sgpr, 54
	.set _ZL20rocblas_hbmvn_kernelILi64ELi16E19rocblas_complex_numIdEPKS1_PS1_EvbiiT1_T2_lllS6_lllS5_T3_llli.num_named_barrier, 0
	.set _ZL20rocblas_hbmvn_kernelILi64ELi16E19rocblas_complex_numIdEPKS1_PS1_EvbiiT1_T2_lllS6_lllS5_T3_llli.private_seg_size, 0
	.set _ZL20rocblas_hbmvn_kernelILi64ELi16E19rocblas_complex_numIdEPKS1_PS1_EvbiiT1_T2_lllS6_lllS5_T3_llli.uses_vcc, 1
	.set _ZL20rocblas_hbmvn_kernelILi64ELi16E19rocblas_complex_numIdEPKS1_PS1_EvbiiT1_T2_lllS6_lllS5_T3_llli.uses_flat_scratch, 0
	.set _ZL20rocblas_hbmvn_kernelILi64ELi16E19rocblas_complex_numIdEPKS1_PS1_EvbiiT1_T2_lllS6_lllS5_T3_llli.has_dyn_sized_stack, 0
	.set _ZL20rocblas_hbmvn_kernelILi64ELi16E19rocblas_complex_numIdEPKS1_PS1_EvbiiT1_T2_lllS6_lllS5_T3_llli.has_recursion, 0
	.set _ZL20rocblas_hbmvn_kernelILi64ELi16E19rocblas_complex_numIdEPKS1_PS1_EvbiiT1_T2_lllS6_lllS5_T3_llli.has_indirect_call, 0
	.section	.AMDGPU.csdata,"",@progbits
; Kernel info:
; codeLenInByte = 2780
; TotalNumSgprs: 56
; NumVgprs: 47
; ScratchSize: 0
; MemoryBound: 1
; FloatMode: 240
; IeeeMode: 1
; LDSByteSize: 16384 bytes/workgroup (compile time only)
; SGPRBlocks: 0
; VGPRBlocks: 5
; NumSGPRsForWavesPerEU: 56
; NumVGPRsForWavesPerEU: 47
; Occupancy: 16
; WaveLimiterHint : 0
; COMPUTE_PGM_RSRC2:SCRATCH_EN: 0
; COMPUTE_PGM_RSRC2:USER_SGPR: 2
; COMPUTE_PGM_RSRC2:TRAP_HANDLER: 0
; COMPUTE_PGM_RSRC2:TGID_X_EN: 1
; COMPUTE_PGM_RSRC2:TGID_Y_EN: 0
; COMPUTE_PGM_RSRC2:TGID_Z_EN: 1
; COMPUTE_PGM_RSRC2:TIDIG_COMP_CNT: 1
	.section	.text._ZL20rocblas_hbmvn_kernelILi64ELi16EPK19rocblas_complex_numIfEPKS3_PKPS1_EvbiiT1_T2_lllSA_lllS9_T3_llli,"axG",@progbits,_ZL20rocblas_hbmvn_kernelILi64ELi16EPK19rocblas_complex_numIfEPKS3_PKPS1_EvbiiT1_T2_lllSA_lllS9_T3_llli,comdat
	.globl	_ZL20rocblas_hbmvn_kernelILi64ELi16EPK19rocblas_complex_numIfEPKS3_PKPS1_EvbiiT1_T2_lllSA_lllS9_T3_llli ; -- Begin function _ZL20rocblas_hbmvn_kernelILi64ELi16EPK19rocblas_complex_numIfEPKS3_PKPS1_EvbiiT1_T2_lllSA_lllS9_T3_llli
	.p2align	8
	.type	_ZL20rocblas_hbmvn_kernelILi64ELi16EPK19rocblas_complex_numIfEPKS3_PKPS1_EvbiiT1_T2_lllSA_lllS9_T3_llli,@function
_ZL20rocblas_hbmvn_kernelILi64ELi16EPK19rocblas_complex_numIfEPKS3_PKPS1_EvbiiT1_T2_lllSA_lllS9_T3_llli: ; @_ZL20rocblas_hbmvn_kernelILi64ELi16EPK19rocblas_complex_numIfEPKS3_PKPS1_EvbiiT1_T2_lllSA_lllS9_T3_llli
; %bb.0:
	s_load_b64 s[2:3], s[0:1], 0x94
	s_wait_kmcnt 0x0
	s_lshr_b32 s4, s2, 16
	s_and_b32 s2, s2, 0xffff
	s_and_b32 s3, s3, 0xffff
	s_mul_i32 s4, s4, s2
	s_delay_alu instid0(SALU_CYCLE_1) | instskip(NEXT) | instid1(SALU_CYCLE_1)
	s_mul_i32 s4, s4, s3
	s_cmp_lg_u32 s4, 0x400
	s_cbranch_scc1 .LBB4_58
; %bb.1:
	s_clause 0x1
	s_load_b256 s[4:11], s[0:1], 0x10
	s_load_b256 s[12:19], s[0:1], 0x58
	s_lshr_b32 s30, ttmp7, 16
	s_wait_kmcnt 0x0
	s_load_b64 s[28:29], s[4:5], 0x0
	s_load_b32 s27, s[0:1], 0x80
	s_load_b64 s[12:13], s[12:13], 0x0
	s_wait_kmcnt 0x0
	s_cmp_neq_f32 s28, 0
	s_cselect_b32 s3, -1, 0
	s_cmp_neq_f32 s29, 0
	s_cselect_b32 s4, -1, 0
	s_delay_alu instid0(SALU_CYCLE_1)
	s_or_b32 s4, s3, s4
	s_mov_b32 s3, 0
	s_and_b32 vcc_lo, exec_lo, s4
	s_mov_b32 s4, -1
	s_cbranch_vccz .LBB4_4
; %bb.2:
	s_and_not1_b32 vcc_lo, exec_lo, s4
	s_cbranch_vccz .LBB4_5
.LBB4_3:
	s_and_not1_b32 vcc_lo, exec_lo, s3
	s_cbranch_vccz .LBB4_6
	s_branch .LBB4_58
.LBB4_4:
	s_cmp_neq_f32 s12, 1.0
	s_cselect_b32 s3, -1, 0
	s_cmp_neq_f32 s13, 0
	s_cselect_b32 s4, -1, 0
	s_delay_alu instid0(SALU_CYCLE_1) | instskip(SKIP_2) | instid1(SALU_CYCLE_1)
	s_or_b32 s3, s3, s4
	s_cmp_lt_u32 s30, s27
	s_cselect_b32 s5, -1, 0
	s_and_b32 s3, s3, s5
	s_cbranch_execnz .LBB4_3
.LBB4_5:
	s_cmp_lt_u32 s30, s27
	s_cselect_b32 s3, -1, 0
	s_delay_alu instid0(SALU_CYCLE_1)
	s_and_not1_b32 vcc_lo, exec_lo, s3
	s_cbranch_vccnz .LBB4_58
.LBB4_6:
	s_clause 0x1
	s_load_b96 s[24:26], s[0:1], 0x0
	s_load_b64 s[34:35], s[0:1], 0x48
	v_and_b32_e32 v1, 0x3ff, v0
	v_bfe_u32 v0, v0, 10, 10
	s_load_b128 s[20:23], s[0:1], 0x38
	s_mov_b32 s31, 0
	s_delay_alu instid0(VALU_DEP_1) | instskip(NEXT) | instid1(VALU_DEP_1)
	v_mad_u32_u24 v13, v0, s2, v1
	v_lshrrev_b32_e32 v29, 6, v13
	v_and_b32_e32 v14, 63, v13
	v_lshlrev_b32_e32 v30, 3, v13
	v_cmp_gt_u32_e64 s3, 64, v13
	s_delay_alu instid0(VALU_DEP_4) | instskip(SKIP_4) | instid1(SALU_CYCLE_1)
	v_mad_co_u64_u32 v[5:6], null, s10, v29, 0
	s_wait_kmcnt 0x0
	s_bitcmp1_b32 s24, 0
	v_mad_co_u64_u32 v[2:3], null, s34, v29, 0
	s_cselect_b32 s0, -1, 0
	s_and_b32 s1, s0, exec_lo
	s_cselect_b32 s38, s26, 0
	s_or_b32 s1, s28, s29
	s_xor_b32 s24, s0, -1
	s_bitset0_b32 s1, 31
	v_mov_b32_e32 v0, v3
	s_cmp_lg_u32 s1, 0
	s_cselect_b32 s33, -1, 0
	s_cmp_eq_u32 s1, 0
	s_delay_alu instid0(VALU_DEP_1)
	v_mad_co_u64_u32 v[3:4], null, s35, v29, v[0:1]
	s_cselect_b32 s36, -1, 0
	s_lshl_b32 s39, ttmp9, 6
	s_cmp_eq_u32 s26, 0
	v_or_b32_e32 v0, s39, v14
	v_add_nc_u32_e32 v15, s39, v13
	s_cselect_b32 s2, -1, 0
	v_sub_nc_u32_e32 v13, s38, v14
	s_wait_alu 0xfffe
	s_or_b32 s37, s24, s2
	v_ashrrev_i32_e32 v1, 31, v0
	s_cmp_neq_f32 s12, 0
	v_ashrrev_i32_e32 v7, 31, v15
	v_mul_lo_u32 v4, s11, v0
	v_mad_co_u64_u32 v[9:10], null, s10, v0, 0
	v_mul_lo_u32 v17, s10, v1
	s_cselect_b32 s40, -1, 0
	s_cmp_neq_f32 s13, 0
	v_mul_lo_u32 v18, s18, v7
	v_lshlrev_b64_e32 v[7:8], 3, v[0:1]
	v_lshlrev_b64_e32 v[1:2], 3, v[2:3]
	s_cselect_b32 s41, -1, 0
	s_lshl_b64 s[4:5], s[10:11], 3
	v_add3_u32 v10, v10, v17, v4
	s_add_nc_u64 s[4:5], s[4:5], -8
	v_add3_u32 v14, s26, s39, v14
	v_mad_co_u64_u32 v[3:4], null, v29, s4, v[7:8]
	v_mad_co_u64_u32 v[6:7], null, s11, v29, v[6:7]
	v_lshlrev_b64_e32 v[9:10], 3, v[9:10]
	v_cmp_gt_i32_e64 s1, s25, v29
	v_cmp_gt_i32_e64 s2, s25, v0
	v_or_b32_e32 v1, 4, v1
	v_mad_co_u64_u32 v[7:8], null, v29, s5, v[4:5]
	v_lshlrev_b64_e32 v[5:6], 3, v[5:6]
	v_subrev_nc_u32_e32 v31, s39, v13
	v_sub_nc_u32_e32 v32, v14, v29
	v_sub_nc_u32_e32 v33, v0, v29
	v_mov_b32_e32 v8, 0
	s_lshl_b64 s[10:11], s[10:11], 7
	v_mov_b32_e32 v4, v7
	v_mul_lo_u32 v16, s19, v15
	v_mad_co_u64_u32 v[11:12], null, s18, v15, 0
	v_cmp_gt_i32_e64 s4, s25, v15
	s_lshl_b64 s[18:19], s[34:35], 7
	s_movk_i32 s34, 0xff80
	s_mov_b32 s35, -1
	s_or_b32 s38, s40, s41
	s_wait_alu 0xfffe
	s_add_nc_u64 s[34:35], s[10:11], s[34:35]
	v_add3_u32 v12, v12, v18, v16
	s_lshl_b64 s[8:9], s[8:9], 3
	s_lshl_b64 s[22:23], s[22:23], 3
	s_lshl_b64 s[16:17], s[16:17], 3
	s_delay_alu instid0(VALU_DEP_1)
	v_lshlrev_b64_e32 v[11:12], 3, v[11:12]
	s_branch .LBB4_9
.LBB4_7:                                ;   in Loop: Header=BB4_9 Depth=1
	v_add_co_u32 v15, vcc_lo, v7, v11
	s_wait_alu 0xfffd
	v_add_co_ci_u32_e64 v16, null, v17, v12, vcc_lo
	flat_store_b64 v[15:16], v[13:14]
.LBB4_8:                                ;   in Loop: Header=BB4_9 Depth=1
	s_wait_alu 0xfffe
	s_or_b32 exec_lo, exec_lo, s5
	s_add_co_i32 s30, s30, 0x10000
	s_delay_alu instid0(SALU_CYCLE_1)
	s_cmp_lt_u32 s30, s27
	s_cbranch_scc0 .LBB4_58
.LBB4_9:                                ; =>This Loop Header: Depth=1
                                        ;     Child Loop BB4_21 Depth 2
	s_and_not1_b32 vcc_lo, exec_lo, s36
	s_mov_b32 s5, -1
	s_wait_alu 0xfffe
	s_cbranch_vccnz .LBB4_11
; %bb.10:                               ;   in Loop: Header=BB4_9 Depth=1
	s_mov_b32 s5, 0
.LBB4_11:                               ;   in Loop: Header=BB4_9 Depth=1
	v_mov_b32_e32 v19, 0
	v_dual_mov_b32 v20, 0 :: v_dual_mov_b32 v13, 0
	v_mov_b32_e32 v14, 0
	s_wait_alu 0xfffe
	s_and_not1_b32 vcc_lo, exec_lo, s5
	s_wait_alu 0xfffe
	s_cbranch_vccnz .LBB4_13
; %bb.12:                               ;   in Loop: Header=BB4_9 Depth=1
	s_lshl_b64 s[40:41], s[30:31], 3
	s_delay_alu instid0(SALU_CYCLE_1)
	s_add_nc_u64 s[40:41], s[6:7], s[40:41]
	global_load_b64 v[13:14], v8, s[40:41]
	s_wait_loadcnt 0x0
	v_add_co_u32 v13, vcc_lo, v13, s8
	s_wait_alu 0xfffd
	v_add_co_ci_u32_e64 v14, null, s9, v14, vcc_lo
.LBB4_13:                               ;   in Loop: Header=BB4_9 Depth=1
	s_and_not1_b32 vcc_lo, exec_lo, s33
	s_wait_alu 0xfffe
	s_cbranch_vccnz .LBB4_15
; %bb.14:                               ;   in Loop: Header=BB4_9 Depth=1
	s_lshl_b64 s[40:41], s[30:31], 3
	s_delay_alu instid0(SALU_CYCLE_1)
	s_add_nc_u64 s[40:41], s[20:21], s[40:41]
	s_wait_loadcnt 0x0
	global_load_b64 v[15:16], v8, s[40:41]
	s_wait_loadcnt 0x0
	v_add_co_u32 v19, vcc_lo, v15, s22
	s_wait_alu 0xfffd
	v_add_co_ci_u32_e64 v20, null, s23, v16, vcc_lo
.LBB4_15:                               ;   in Loop: Header=BB4_9 Depth=1
	s_lshl_b64 s[40:41], s[30:31], 3
	s_and_not1_b32 vcc_lo, exec_lo, s33
	s_add_nc_u64 s[40:41], s[14:15], s[40:41]
	s_wait_loadcnt 0x0
	global_load_b64 v[15:16], v8, s[40:41]
	s_wait_alu 0xfffe
	s_cbranch_vccnz .LBB4_47
; %bb.16:                               ;   in Loop: Header=BB4_9 Depth=1
	v_dual_mov_b32 v18, 0 :: v_dual_mov_b32 v17, 0
	s_and_saveexec_b32 s39, s1
	s_cbranch_execz .LBB4_46
; %bb.17:                               ;   in Loop: Header=BB4_9 Depth=1
	v_add_co_u32 v34, vcc_lo, v13, v9
	s_wait_alu 0xfffd
	v_add_co_ci_u32_e64 v35, null, v14, v10, vcc_lo
	v_add_co_u32 v19, vcc_lo, v19, v1
	v_mov_b32_e32 v22, v4
	v_dual_mov_b32 v26, v6 :: v_dual_mov_b32 v37, v29
	s_wait_alu 0xfffd
	v_add_co_ci_u32_e64 v20, null, v20, v2, vcc_lo
	v_dual_mov_b32 v18, 0 :: v_dual_mov_b32 v21, v3
	v_dual_mov_b32 v36, v33 :: v_dual_mov_b32 v23, v32
	v_mov_b32_e32 v25, v5
	v_mov_b32_e32 v17, 0
	s_mov_b32 s40, 0
	s_branch .LBB4_21
.LBB4_18:                               ;   in Loop: Header=BB4_21 Depth=2
	s_wait_alu 0xfffe
	s_or_b32 exec_lo, exec_lo, s5
.LBB4_19:                               ;   in Loop: Header=BB4_21 Depth=2
	s_delay_alu instid0(SALU_CYCLE_1)
	s_or_b32 exec_lo, exec_lo, s42
.LBB4_20:                               ;   in Loop: Header=BB4_21 Depth=2
	s_delay_alu instid0(SALU_CYCLE_1)
	s_or_b32 exec_lo, exec_lo, s41
	v_add_nc_u32_e32 v37, 16, v37
	v_add_co_u32 v19, vcc_lo, v19, s18
	s_wait_alu 0xfffd
	v_add_co_ci_u32_e64 v20, null, s19, v20, vcc_lo
	v_add_co_u32 v25, vcc_lo, v25, s10
	s_wait_alu 0xfffd
	v_add_co_ci_u32_e64 v26, null, s11, v26, vcc_lo
	v_cmp_le_i32_e32 vcc_lo, s25, v37
	v_add_co_u32 v21, s5, v21, s34
	v_add_nc_u32_e32 v23, -16, v23
	s_wait_alu 0xf1ff
	v_add_co_ci_u32_e64 v22, null, s35, v22, s5
	v_add_nc_u32_e32 v36, -16, v36
	s_or_b32 s40, vcc_lo, s40
	s_delay_alu instid0(SALU_CYCLE_1)
	s_and_not1_b32 exec_lo, exec_lo, s40
	s_cbranch_execz .LBB4_45
.LBB4_21:                               ;   Parent Loop BB4_9 Depth=1
                                        ; =>  This Inner Loop Header: Depth=2
	s_and_saveexec_b32 s41, s2
	s_cbranch_execz .LBB4_20
; %bb.22:                               ;   in Loop: Header=BB4_21 Depth=2
	v_cmp_gt_i32_e32 vcc_lo, v0, v37
	s_wait_alu 0xfffd
	v_cndmask_b32_e64 v7, 0, 1, vcc_lo
	v_cmp_lt_i32_e32 vcc_lo, v0, v37
	s_wait_alu 0xfffd
	v_cndmask_b32_e64 v24, 0, 1, vcc_lo
	s_delay_alu instid0(VALU_DEP_1) | instskip(NEXT) | instid1(VALU_DEP_1)
	v_cndmask_b32_e64 v7, v24, v7, s0
	v_and_b32_e32 v7, 1, v7
	s_delay_alu instid0(VALU_DEP_1) | instskip(SKIP_3) | instid1(SALU_CYCLE_1)
	v_cmp_eq_u32_e32 vcc_lo, 1, v7
	s_xor_b32 s5, vcc_lo, -1
	s_wait_alu 0xfffe
	s_and_saveexec_b32 s42, s5
	s_xor_b32 s42, exec_lo, s42
	s_cbranch_execz .LBB4_42
; %bb.23:                               ;   in Loop: Header=BB4_21 Depth=2
	v_add_nc_u32_e32 v7, s26, v36
	s_delay_alu instid0(VALU_DEP_1) | instskip(NEXT) | instid1(VALU_DEP_1)
	v_cndmask_b32_e64 v7, v36, v7, s0
	v_cmp_le_i32_e32 vcc_lo, s26, v7
	v_cmp_gt_i32_e64 s5, 1, v7
	s_or_b32 s5, vcc_lo, s5
	s_wait_alu 0xfffe
	s_and_saveexec_b32 s43, s5
	s_delay_alu instid0(SALU_CYCLE_1)
	s_xor_b32 s5, exec_lo, s43
	s_cbranch_execz .LBB4_39
; %bb.24:                               ;   in Loop: Header=BB4_21 Depth=2
	s_mov_b32 s43, exec_lo
	v_cmpx_ne_u32_e32 0, v7
	s_xor_b32 s43, exec_lo, s43
	s_cbranch_execz .LBB4_32
; %bb.25:                               ;   in Loop: Header=BB4_21 Depth=2
	s_mov_b32 s44, exec_lo
	v_cmpx_eq_u32_e64 s26, v7
	s_cbranch_execz .LBB4_31
; %bb.26:                               ;   in Loop: Header=BB4_21 Depth=2
	s_and_b32 vcc_lo, exec_lo, s24
	s_mov_b32 s45, -1
                                        ; implicit-def: $vgpr7
                                        ; implicit-def: $vgpr24
	s_wait_alu 0xfffe
	s_cbranch_vccz .LBB4_28
; %bb.27:                               ;   in Loop: Header=BB4_21 Depth=2
	v_add_co_u32 v27, vcc_lo, v13, v21
	s_wait_alu 0xfffd
	v_add_co_ci_u32_e64 v28, null, v14, v22, vcc_lo
	s_mov_b32 s45, 0
	flat_load_b64 v[38:39], v[19:20] offset:-4
	flat_load_b64 v[27:28], v[27:28]
	s_wait_loadcnt_dscnt 0x0
	v_mul_f32_e32 v7, v39, v28
	v_mul_f32_e32 v28, v38, v28
	s_delay_alu instid0(VALU_DEP_2) | instskip(NEXT) | instid1(VALU_DEP_2)
	v_fma_f32 v7, v38, v27, -v7
	v_fmac_f32_e32 v28, v39, v27
	s_delay_alu instid0(VALU_DEP_1)
	v_dual_add_f32 v24, v17, v7 :: v_dual_add_f32 v7, v18, v28
.LBB4_28:                               ;   in Loop: Header=BB4_21 Depth=2
	s_and_not1_b32 vcc_lo, exec_lo, s45
	s_wait_alu 0xfffe
	s_cbranch_vccnz .LBB4_30
; %bb.29:                               ;   in Loop: Header=BB4_21 Depth=2
	v_ashrrev_i32_e32 v24, 31, v23
	s_delay_alu instid0(VALU_DEP_1) | instskip(NEXT) | instid1(VALU_DEP_1)
	v_lshlrev_b64_e32 v[27:28], 3, v[23:24]
	v_add_co_u32 v7, vcc_lo, v25, v27
	s_wait_alu 0xfffd
	s_delay_alu instid0(VALU_DEP_2) | instskip(NEXT) | instid1(VALU_DEP_2)
	v_add_co_ci_u32_e64 v24, null, v26, v28, vcc_lo
	v_add_co_u32 v27, vcc_lo, v13, v7
	s_wait_alu 0xfffd
	s_delay_alu instid0(VALU_DEP_2)
	v_add_co_ci_u32_e64 v28, null, v14, v24, vcc_lo
	flat_load_b64 v[38:39], v[19:20] offset:-4
	flat_load_b32 v7, v[27:28]
	s_wait_loadcnt_dscnt 0x0
	v_fmac_f32_e32 v18, v7, v39
	v_fmac_f32_e32 v17, v7, v38
	s_delay_alu instid0(VALU_DEP_1)
	v_dual_mov_b32 v7, v18 :: v_dual_mov_b32 v24, v17
.LBB4_30:                               ;   in Loop: Header=BB4_21 Depth=2
	s_delay_alu instid0(VALU_DEP_1)
	v_dual_mov_b32 v18, v7 :: v_dual_mov_b32 v17, v24
.LBB4_31:                               ;   in Loop: Header=BB4_21 Depth=2
	s_or_b32 exec_lo, exec_lo, s44
.LBB4_32:                               ;   in Loop: Header=BB4_21 Depth=2
	s_and_not1_saveexec_b32 s43, s43
	s_cbranch_execz .LBB4_38
; %bb.33:                               ;   in Loop: Header=BB4_21 Depth=2
	v_add_co_u32 v27, vcc_lo, v13, v25
	s_wait_alu 0xfffd
	v_add_co_ci_u32_e64 v28, null, v14, v26, vcc_lo
	s_and_not1_b32 vcc_lo, exec_lo, s37
	s_mov_b32 s44, -1
                                        ; implicit-def: $vgpr24
                                        ; implicit-def: $vgpr7
	s_wait_alu 0xfffe
	s_cbranch_vccnz .LBB4_35
; %bb.34:                               ;   in Loop: Header=BB4_21 Depth=2
	flat_load_b32 v24, v[27:28]
	flat_load_b64 v[38:39], v[19:20] offset:-4
	s_mov_b32 s44, 0
	s_wait_loadcnt_dscnt 0x0
	v_fma_f32 v7, v24, v38, v17
	v_fma_f32 v24, v24, v39, v18
.LBB4_35:                               ;   in Loop: Header=BB4_21 Depth=2
	s_and_not1_b32 vcc_lo, exec_lo, s44
	s_wait_alu 0xfffe
	s_cbranch_vccnz .LBB4_37
; %bb.36:                               ;   in Loop: Header=BB4_21 Depth=2
	flat_load_b64 v[27:28], v[27:28]
	flat_load_b64 v[38:39], v[19:20] offset:-4
	s_wait_loadcnt_dscnt 0x0
	v_mul_f32_e32 v7, v39, v28
	s_delay_alu instid0(VALU_DEP_1) | instskip(NEXT) | instid1(VALU_DEP_1)
	v_fma_f32 v7, v38, v27, -v7
	v_dual_mul_f32 v24, v38, v28 :: v_dual_add_f32 v7, v17, v7
	s_delay_alu instid0(VALU_DEP_1) | instskip(NEXT) | instid1(VALU_DEP_1)
	v_fmac_f32_e32 v24, v39, v27
	v_add_f32_e32 v24, v18, v24
.LBB4_37:                               ;   in Loop: Header=BB4_21 Depth=2
	s_delay_alu instid0(VALU_DEP_1)
	v_dual_mov_b32 v18, v24 :: v_dual_mov_b32 v17, v7
.LBB4_38:                               ;   in Loop: Header=BB4_21 Depth=2
	s_or_b32 exec_lo, exec_lo, s43
.LBB4_39:                               ;   in Loop: Header=BB4_21 Depth=2
	s_wait_alu 0xfffe
	s_and_not1_saveexec_b32 s5, s5
	s_cbranch_execz .LBB4_41
; %bb.40:                               ;   in Loop: Header=BB4_21 Depth=2
	v_lshlrev_b64_e32 v[27:28], 3, v[7:8]
	s_delay_alu instid0(VALU_DEP_1) | instskip(SKIP_1) | instid1(VALU_DEP_2)
	v_add_co_u32 v7, vcc_lo, v25, v27
	s_wait_alu 0xfffd
	v_add_co_ci_u32_e64 v24, null, v26, v28, vcc_lo
	s_delay_alu instid0(VALU_DEP_2) | instskip(SKIP_1) | instid1(VALU_DEP_2)
	v_add_co_u32 v27, vcc_lo, v13, v7
	s_wait_alu 0xfffd
	v_add_co_ci_u32_e64 v28, null, v14, v24, vcc_lo
	flat_load_b64 v[38:39], v[19:20] offset:-4
	flat_load_b64 v[27:28], v[27:28]
	s_wait_loadcnt_dscnt 0x0
	v_mul_f32_e32 v7, v39, v28
	s_delay_alu instid0(VALU_DEP_1) | instskip(NEXT) | instid1(VALU_DEP_1)
	v_fma_f32 v7, v38, v27, -v7
	v_dual_mul_f32 v24, v38, v28 :: v_dual_add_f32 v17, v17, v7
	s_delay_alu instid0(VALU_DEP_1) | instskip(NEXT) | instid1(VALU_DEP_1)
	v_fmac_f32_e32 v24, v39, v27
	v_add_f32_e32 v18, v18, v24
.LBB4_41:                               ;   in Loop: Header=BB4_21 Depth=2
	s_wait_alu 0xfffe
	s_or_b32 exec_lo, exec_lo, s5
.LBB4_42:                               ;   in Loop: Header=BB4_21 Depth=2
	s_and_not1_saveexec_b32 s42, s42
	s_cbranch_execz .LBB4_19
; %bb.43:                               ;   in Loop: Header=BB4_21 Depth=2
	v_add_nc_u32_e32 v7, v31, v37
	s_delay_alu instid0(VALU_DEP_1) | instskip(SKIP_2) | instid1(SALU_CYCLE_1)
	v_cmp_ge_i32_e32 vcc_lo, s26, v7
	v_cmp_lt_i32_e64 s5, -1, v7
	s_and_b32 s43, vcc_lo, s5
	s_and_saveexec_b32 s5, s43
	s_cbranch_execz .LBB4_18
; %bb.44:                               ;   in Loop: Header=BB4_21 Depth=2
	v_lshlrev_b64_e32 v[27:28], 3, v[7:8]
	s_delay_alu instid0(VALU_DEP_1) | instskip(SKIP_1) | instid1(VALU_DEP_2)
	v_add_co_u32 v27, vcc_lo, v34, v27
	s_wait_alu 0xfffd
	v_add_co_ci_u32_e64 v28, null, v35, v28, vcc_lo
	flat_load_b64 v[38:39], v[19:20] offset:-4
	flat_load_b64 v[27:28], v[27:28]
	s_wait_loadcnt_dscnt 0x0
	v_mul_f32_e32 v24, v28, v38
	s_delay_alu instid0(VALU_DEP_1) | instskip(NEXT) | instid1(VALU_DEP_1)
	v_fma_f32 v24, v27, v39, -v24
	v_dual_mul_f32 v7, v28, v39 :: v_dual_add_f32 v18, v18, v24
	s_delay_alu instid0(VALU_DEP_1) | instskip(NEXT) | instid1(VALU_DEP_1)
	v_fmac_f32_e32 v7, v27, v38
	v_add_f32_e32 v17, v17, v7
	s_branch .LBB4_18
.LBB4_45:                               ;   in Loop: Header=BB4_9 Depth=1
	s_or_b32 exec_lo, exec_lo, s40
.LBB4_46:                               ;   in Loop: Header=BB4_9 Depth=1
	s_wait_alu 0xfffe
	s_or_b32 exec_lo, exec_lo, s39
	ds_store_b64 v30, v[17:18]
	s_wait_loadcnt_dscnt 0x0
	s_barrier_signal -1
	s_barrier_wait -1
	global_inv scope:SCOPE_SE
.LBB4_47:                               ;   in Loop: Header=BB4_9 Depth=1
	s_and_saveexec_b32 s5, s3
	s_cbranch_execz .LBB4_8
; %bb.48:                               ;   in Loop: Header=BB4_9 Depth=1
	s_wait_loadcnt 0x0
	v_add_co_u32 v7, vcc_lo, v15, s16
	s_wait_alu 0xfffd
	v_add_co_ci_u32_e64 v17, null, s17, v16, vcc_lo
	s_and_b32 vcc_lo, exec_lo, s36
	s_mov_b32 s39, -1
	s_wait_alu 0xfffe
	s_cbranch_vccz .LBB4_54
; %bb.49:                               ;   in Loop: Header=BB4_9 Depth=1
	s_and_saveexec_b32 s39, s4
	s_cbranch_execz .LBB4_53
; %bb.50:                               ;   in Loop: Header=BB4_9 Depth=1
	v_dual_mov_b32 v14, 0 :: v_dual_mov_b32 v13, 0
	s_and_not1_b32 vcc_lo, exec_lo, s38
	s_wait_alu 0xfffe
	s_cbranch_vccnz .LBB4_52
; %bb.51:                               ;   in Loop: Header=BB4_9 Depth=1
	v_add_co_u32 v13, vcc_lo, v7, v11
	s_wait_alu 0xfffd
	v_add_co_ci_u32_e64 v14, null, v17, v12, vcc_lo
	flat_load_b64 v[15:16], v[13:14]
	s_wait_loadcnt_dscnt 0x0
	v_mul_f32_e32 v14, s12, v16
	s_delay_alu instid0(VALU_DEP_1) | instskip(NEXT) | instid1(VALU_DEP_1)
	v_dual_mul_f32 v13, s13, v16 :: v_dual_fmac_f32 v14, s13, v15
	v_fma_f32 v13, s12, v15, -v13
.LBB4_52:                               ;   in Loop: Header=BB4_9 Depth=1
	v_add_co_u32 v15, vcc_lo, v7, v11
	s_wait_alu 0xfffd
	v_add_co_ci_u32_e64 v16, null, v17, v12, vcc_lo
	flat_store_b64 v[15:16], v[13:14]
.LBB4_53:                               ;   in Loop: Header=BB4_9 Depth=1
	s_wait_alu 0xfffe
	s_or_b32 exec_lo, exec_lo, s39
	s_mov_b32 s39, 0
.LBB4_54:                               ;   in Loop: Header=BB4_9 Depth=1
	s_wait_alu 0xfffe
	s_and_not1_b32 vcc_lo, exec_lo, s39
	s_wait_alu 0xfffe
	s_cbranch_vccnz .LBB4_8
; %bb.55:                               ;   in Loop: Header=BB4_9 Depth=1
	ds_load_2addr_stride64_b64 v[13:16], v30 offset1:1
	ds_load_2addr_stride64_b64 v[18:21], v30 offset0:2 offset1:3
	ds_load_2addr_stride64_b64 v[22:25], v30 offset0:4 offset1:5
	s_wait_dscnt 0x2
	v_dual_add_f32 v26, v13, v15 :: v_dual_add_f32 v27, v14, v16
	ds_load_2addr_stride64_b64 v[13:16], v30 offset0:6 offset1:7
	s_wait_dscnt 0x2
	v_dual_add_f32 v18, v26, v18 :: v_dual_add_f32 v19, v27, v19
	s_delay_alu instid0(VALU_DEP_1) | instskip(SKIP_3) | instid1(VALU_DEP_1)
	v_dual_add_f32 v26, v18, v20 :: v_dual_add_f32 v27, v19, v21
	ds_load_2addr_stride64_b64 v[18:21], v30 offset0:8 offset1:9
	s_wait_dscnt 0x2
	v_dual_add_f32 v22, v26, v22 :: v_dual_add_f32 v23, v27, v23
	v_dual_add_f32 v26, v22, v24 :: v_dual_add_f32 v27, v23, v25
	ds_load_2addr_stride64_b64 v[22:25], v30 offset0:10 offset1:11
	s_wait_dscnt 0x2
	v_dual_add_f32 v13, v26, v13 :: v_dual_add_f32 v14, v27, v14
	s_delay_alu instid0(VALU_DEP_1) | instskip(SKIP_3) | instid1(VALU_DEP_1)
	v_dual_add_f32 v26, v13, v15 :: v_dual_add_f32 v27, v14, v16
	ds_load_2addr_stride64_b64 v[13:16], v30 offset0:12 offset1:13
	s_wait_dscnt 0x2
	v_dual_add_f32 v18, v26, v18 :: v_dual_add_f32 v19, v27, v19
	v_dual_add_f32 v26, v18, v20 :: v_dual_add_f32 v27, v19, v21
	ds_load_2addr_stride64_b64 v[18:21], v30 offset0:14 offset1:15
	s_wait_dscnt 0x2
	v_dual_add_f32 v22, v26, v22 :: v_dual_add_f32 v23, v27, v23
	s_delay_alu instid0(VALU_DEP_1) | instskip(SKIP_1) | instid1(VALU_DEP_1)
	v_dual_add_f32 v22, v22, v24 :: v_dual_add_f32 v23, v23, v25
	s_wait_dscnt 0x1
	v_dual_add_f32 v13, v22, v13 :: v_dual_add_f32 v14, v23, v14
	s_delay_alu instid0(VALU_DEP_1) | instskip(SKIP_1) | instid1(VALU_DEP_1)
	v_dual_add_f32 v13, v13, v15 :: v_dual_add_f32 v14, v14, v16
	s_wait_dscnt 0x0
	v_dual_add_f32 v13, v13, v18 :: v_dual_add_f32 v14, v14, v19
	s_delay_alu instid0(VALU_DEP_1)
	v_dual_add_f32 v15, v13, v20 :: v_dual_add_f32 v16, v14, v21
	ds_store_b64 v30, v[15:16]
	s_and_b32 exec_lo, exec_lo, s4
	s_cbranch_execz .LBB4_8
; %bb.56:                               ;   in Loop: Header=BB4_9 Depth=1
	v_mul_f32_e32 v14, s28, v16
	v_mul_f32_e32 v13, s29, v16
	s_and_not1_b32 vcc_lo, exec_lo, s38
	s_delay_alu instid0(VALU_DEP_2) | instskip(NEXT) | instid1(VALU_DEP_2)
	v_fmac_f32_e32 v14, s29, v15
	v_fma_f32 v13, v15, s28, -v13
	s_wait_alu 0xfffe
	s_cbranch_vccnz .LBB4_7
; %bb.57:                               ;   in Loop: Header=BB4_9 Depth=1
	v_add_co_u32 v15, vcc_lo, v7, v11
	s_wait_alu 0xfffd
	v_add_co_ci_u32_e64 v16, null, v17, v12, vcc_lo
	flat_load_b64 v[15:16], v[15:16]
	s_wait_loadcnt_dscnt 0x0
	v_mul_f32_e32 v18, s13, v16
	s_delay_alu instid0(VALU_DEP_1) | instskip(NEXT) | instid1(VALU_DEP_1)
	v_fma_f32 v18, s12, v15, -v18
	v_dual_mul_f32 v16, s12, v16 :: v_dual_add_f32 v13, v13, v18
	s_delay_alu instid0(VALU_DEP_1) | instskip(NEXT) | instid1(VALU_DEP_1)
	v_fmac_f32_e32 v16, s13, v15
	v_add_f32_e32 v14, v14, v16
	s_branch .LBB4_7
.LBB4_58:
	s_endpgm
	.section	.rodata,"a",@progbits
	.p2align	6, 0x0
	.amdhsa_kernel _ZL20rocblas_hbmvn_kernelILi64ELi16EPK19rocblas_complex_numIfEPKS3_PKPS1_EvbiiT1_T2_lllSA_lllS9_T3_llli
		.amdhsa_group_segment_fixed_size 8192
		.amdhsa_private_segment_fixed_size 0
		.amdhsa_kernarg_size 392
		.amdhsa_user_sgpr_count 2
		.amdhsa_user_sgpr_dispatch_ptr 0
		.amdhsa_user_sgpr_queue_ptr 0
		.amdhsa_user_sgpr_kernarg_segment_ptr 1
		.amdhsa_user_sgpr_dispatch_id 0
		.amdhsa_user_sgpr_private_segment_size 0
		.amdhsa_wavefront_size32 1
		.amdhsa_uses_dynamic_stack 0
		.amdhsa_enable_private_segment 0
		.amdhsa_system_sgpr_workgroup_id_x 1
		.amdhsa_system_sgpr_workgroup_id_y 0
		.amdhsa_system_sgpr_workgroup_id_z 1
		.amdhsa_system_sgpr_workgroup_info 0
		.amdhsa_system_vgpr_workitem_id 1
		.amdhsa_next_free_vgpr 40
		.amdhsa_next_free_sgpr 46
		.amdhsa_reserve_vcc 1
		.amdhsa_float_round_mode_32 0
		.amdhsa_float_round_mode_16_64 0
		.amdhsa_float_denorm_mode_32 3
		.amdhsa_float_denorm_mode_16_64 3
		.amdhsa_fp16_overflow 0
		.amdhsa_workgroup_processor_mode 1
		.amdhsa_memory_ordered 1
		.amdhsa_forward_progress 1
		.amdhsa_inst_pref_size 21
		.amdhsa_round_robin_scheduling 0
		.amdhsa_exception_fp_ieee_invalid_op 0
		.amdhsa_exception_fp_denorm_src 0
		.amdhsa_exception_fp_ieee_div_zero 0
		.amdhsa_exception_fp_ieee_overflow 0
		.amdhsa_exception_fp_ieee_underflow 0
		.amdhsa_exception_fp_ieee_inexact 0
		.amdhsa_exception_int_div_zero 0
	.end_amdhsa_kernel
	.section	.text._ZL20rocblas_hbmvn_kernelILi64ELi16EPK19rocblas_complex_numIfEPKS3_PKPS1_EvbiiT1_T2_lllSA_lllS9_T3_llli,"axG",@progbits,_ZL20rocblas_hbmvn_kernelILi64ELi16EPK19rocblas_complex_numIfEPKS3_PKPS1_EvbiiT1_T2_lllSA_lllS9_T3_llli,comdat
.Lfunc_end4:
	.size	_ZL20rocblas_hbmvn_kernelILi64ELi16EPK19rocblas_complex_numIfEPKS3_PKPS1_EvbiiT1_T2_lllSA_lllS9_T3_llli, .Lfunc_end4-_ZL20rocblas_hbmvn_kernelILi64ELi16EPK19rocblas_complex_numIfEPKS3_PKPS1_EvbiiT1_T2_lllSA_lllS9_T3_llli
                                        ; -- End function
	.set _ZL20rocblas_hbmvn_kernelILi64ELi16EPK19rocblas_complex_numIfEPKS3_PKPS1_EvbiiT1_T2_lllSA_lllS9_T3_llli.num_vgpr, 40
	.set _ZL20rocblas_hbmvn_kernelILi64ELi16EPK19rocblas_complex_numIfEPKS3_PKPS1_EvbiiT1_T2_lllSA_lllS9_T3_llli.num_agpr, 0
	.set _ZL20rocblas_hbmvn_kernelILi64ELi16EPK19rocblas_complex_numIfEPKS3_PKPS1_EvbiiT1_T2_lllSA_lllS9_T3_llli.numbered_sgpr, 46
	.set _ZL20rocblas_hbmvn_kernelILi64ELi16EPK19rocblas_complex_numIfEPKS3_PKPS1_EvbiiT1_T2_lllSA_lllS9_T3_llli.num_named_barrier, 0
	.set _ZL20rocblas_hbmvn_kernelILi64ELi16EPK19rocblas_complex_numIfEPKS3_PKPS1_EvbiiT1_T2_lllSA_lllS9_T3_llli.private_seg_size, 0
	.set _ZL20rocblas_hbmvn_kernelILi64ELi16EPK19rocblas_complex_numIfEPKS3_PKPS1_EvbiiT1_T2_lllSA_lllS9_T3_llli.uses_vcc, 1
	.set _ZL20rocblas_hbmvn_kernelILi64ELi16EPK19rocblas_complex_numIfEPKS3_PKPS1_EvbiiT1_T2_lllSA_lllS9_T3_llli.uses_flat_scratch, 0
	.set _ZL20rocblas_hbmvn_kernelILi64ELi16EPK19rocblas_complex_numIfEPKS3_PKPS1_EvbiiT1_T2_lllSA_lllS9_T3_llli.has_dyn_sized_stack, 0
	.set _ZL20rocblas_hbmvn_kernelILi64ELi16EPK19rocblas_complex_numIfEPKS3_PKPS1_EvbiiT1_T2_lllSA_lllS9_T3_llli.has_recursion, 0
	.set _ZL20rocblas_hbmvn_kernelILi64ELi16EPK19rocblas_complex_numIfEPKS3_PKPS1_EvbiiT1_T2_lllSA_lllS9_T3_llli.has_indirect_call, 0
	.section	.AMDGPU.csdata,"",@progbits
; Kernel info:
; codeLenInByte = 2620
; TotalNumSgprs: 48
; NumVgprs: 40
; ScratchSize: 0
; MemoryBound: 0
; FloatMode: 240
; IeeeMode: 1
; LDSByteSize: 8192 bytes/workgroup (compile time only)
; SGPRBlocks: 0
; VGPRBlocks: 4
; NumSGPRsForWavesPerEU: 48
; NumVGPRsForWavesPerEU: 40
; Occupancy: 16
; WaveLimiterHint : 1
; COMPUTE_PGM_RSRC2:SCRATCH_EN: 0
; COMPUTE_PGM_RSRC2:USER_SGPR: 2
; COMPUTE_PGM_RSRC2:TRAP_HANDLER: 0
; COMPUTE_PGM_RSRC2:TGID_X_EN: 1
; COMPUTE_PGM_RSRC2:TGID_Y_EN: 0
; COMPUTE_PGM_RSRC2:TGID_Z_EN: 1
; COMPUTE_PGM_RSRC2:TIDIG_COMP_CNT: 1
	.section	.text._ZL20rocblas_hbmvn_kernelILi64ELi16E19rocblas_complex_numIfEPKPKS1_PKPS1_EvbiiT1_T2_lllSA_lllS9_T3_llli,"axG",@progbits,_ZL20rocblas_hbmvn_kernelILi64ELi16E19rocblas_complex_numIfEPKPKS1_PKPS1_EvbiiT1_T2_lllSA_lllS9_T3_llli,comdat
	.globl	_ZL20rocblas_hbmvn_kernelILi64ELi16E19rocblas_complex_numIfEPKPKS1_PKPS1_EvbiiT1_T2_lllSA_lllS9_T3_llli ; -- Begin function _ZL20rocblas_hbmvn_kernelILi64ELi16E19rocblas_complex_numIfEPKPKS1_PKPS1_EvbiiT1_T2_lllSA_lllS9_T3_llli
	.p2align	8
	.type	_ZL20rocblas_hbmvn_kernelILi64ELi16E19rocblas_complex_numIfEPKPKS1_PKPS1_EvbiiT1_T2_lllSA_lllS9_T3_llli,@function
_ZL20rocblas_hbmvn_kernelILi64ELi16E19rocblas_complex_numIfEPKPKS1_PKPS1_EvbiiT1_T2_lllSA_lllS9_T3_llli: ; @_ZL20rocblas_hbmvn_kernelILi64ELi16E19rocblas_complex_numIfEPKPKS1_PKPS1_EvbiiT1_T2_lllSA_lllS9_T3_llli
; %bb.0:
	s_load_b64 s[4:5], s[0:1], 0x94
	s_wait_kmcnt 0x0
	s_lshr_b32 s2, s4, 16
	s_and_b32 s3, s4, 0xffff
	s_and_b32 s4, s5, 0xffff
	s_mul_i32 s2, s2, s3
	s_delay_alu instid0(SALU_CYCLE_1) | instskip(NEXT) | instid1(SALU_CYCLE_1)
	s_mul_i32 s2, s2, s4
	s_cmp_lg_u32 s2, 0x400
	s_cbranch_scc1 .LBB5_58
; %bb.1:
	s_clause 0x3
	s_load_b128 s[8:11], s[0:1], 0x0
	s_load_b32 s33, s[0:1], 0x10
	s_load_b32 s34, s[0:1], 0x80
	s_load_b64 s[6:7], s[0:1], 0x58
	s_lshr_b32 s24, ttmp7, 16
	s_wait_kmcnt 0x0
	s_cmp_neq_f32 s11, 0
	s_cselect_b32 s2, -1, 0
	s_cmp_neq_f32 s33, 0
	s_cselect_b32 s4, -1, 0
	s_delay_alu instid0(SALU_CYCLE_1)
	s_or_b32 s4, s2, s4
	s_mov_b32 s2, 0
	s_and_b32 vcc_lo, exec_lo, s4
	s_mov_b32 s4, -1
	s_cbranch_vccz .LBB5_4
; %bb.2:
	s_and_not1_b32 vcc_lo, exec_lo, s4
	s_cbranch_vccz .LBB5_5
.LBB5_3:
	s_and_not1_b32 vcc_lo, exec_lo, s2
	s_cbranch_vccz .LBB5_6
	s_branch .LBB5_58
.LBB5_4:
	s_cmp_neq_f32 s6, 1.0
	s_cselect_b32 s2, -1, 0
	s_cmp_neq_f32 s7, 0
	s_cselect_b32 s4, -1, 0
	s_delay_alu instid0(SALU_CYCLE_1) | instskip(SKIP_2) | instid1(SALU_CYCLE_1)
	s_or_b32 s2, s2, s4
	s_cmp_lt_u32 s24, s34
	s_cselect_b32 s5, -1, 0
	s_and_b32 s2, s2, s5
	s_cbranch_execnz .LBB5_3
.LBB5_5:
	s_cmp_lt_u32 s24, s34
	s_cselect_b32 s2, -1, 0
	s_delay_alu instid0(SALU_CYCLE_1)
	s_and_not1_b32 vcc_lo, exec_lo, s2
	s_cbranch_vccnz .LBB5_58
.LBB5_6:
	s_bitcmp1_b32 s8, 0
	s_clause 0x1
	s_load_b64 s[26:27], s[0:1], 0x48
	s_load_b128 s[16:19], s[0:1], 0x38
	s_cselect_b32 s2, -1, 0
	v_and_b32_e32 v1, 0x3ff, v0
	v_bfe_u32 v0, v0, 10, 10
	s_and_b32 s4, s2, exec_lo
	s_cselect_b32 s30, s10, 0
	s_or_b32 s4, s11, s33
	s_clause 0x1
	s_load_b64 s[28:29], s[0:1], 0x28
	s_load_b128 s[12:15], s[0:1], 0x18
	s_bitset0_b32 s4, 31
	v_mad_u32_u24 v13, v0, s3, v1
	s_xor_b32 s8, s2, -1
	s_cmp_lg_u32 s4, 0
	s_mov_b32 s25, 0
	s_cselect_b32 s35, -1, 0
	s_cmp_eq_u32 s4, 0
	s_clause 0x1
	s_load_b64 s[4:5], s[0:1], 0x70
	s_load_b128 s[20:23], s[0:1], 0x60
	v_and_b32_e32 v14, 63, v13
	s_cselect_b32 s36, -1, 0
	s_lshl_b32 s31, ttmp9, 6
	v_lshrrev_b32_e32 v29, 6, v13
	s_cmp_eq_u32 s10, 0
	v_or_b32_e32 v0, s31, v14
	v_add_nc_u32_e32 v15, s31, v13
	s_cselect_b32 s0, -1, 0
	s_wait_kmcnt 0x0
	v_mad_co_u64_u32 v[2:3], null, s26, v29, 0
	v_ashrrev_i32_e32 v1, 31, v0
	s_or_b32 s37, s8, s0
	s_cmp_neq_f32 s6, 0
	v_ashrrev_i32_e32 v7, 31, v15
	v_mul_lo_u32 v6, s29, v0
	v_mul_lo_u32 v5, s28, v1
	v_mad_co_u64_u32 v[9:10], null, s28, v0, 0
	s_cselect_b32 s38, -1, 0
	s_cmp_neq_f32 s7, 0
	v_mad_co_u64_u32 v[3:4], null, s27, v29, v[3:4]
	v_mul_lo_u32 v16, s4, v7
	v_lshlrev_b64_e32 v[7:8], 3, v[0:1]
	s_cselect_b32 s39, -1, 0
	v_mul_lo_u32 v17, s5, v15
	v_mad_co_u64_u32 v[11:12], null, s4, v15, 0
	s_lshl_b64 s[4:5], s[28:29], 3
	v_add3_u32 v10, v10, v5, v6
	s_wait_alu 0xfffe
	s_add_nc_u64 s[4:5], s[4:5], -8
	v_mad_co_u64_u32 v[5:6], null, s28, v29, 0
	v_lshlrev_b64_e32 v[1:2], 3, v[2:3]
	s_wait_alu 0xfffe
	v_mad_co_u64_u32 v[3:4], null, v29, s4, v[7:8]
	v_add3_u32 v12, v12, v16, v17
	v_lshlrev_b32_e32 v30, 3, v13
	v_cmp_gt_u32_e64 s3, 64, v13
	v_mad_co_u64_u32 v[6:7], null, s29, v29, v[6:7]
	v_sub_nc_u32_e32 v13, s30, v14
	v_mad_co_u64_u32 v[7:8], null, v29, s5, v[4:5]
	v_add3_u32 v14, s10, s31, v14
	v_lshlrev_b64_e32 v[9:10], 3, v[9:10]
	v_lshlrev_b64_e32 v[11:12], 3, v[11:12]
	;; [unrolled: 1-line block ×3, first 2 shown]
	v_cmp_gt_i32_e64 s0, s9, v29
	v_cmp_gt_i32_e64 s1, s9, v0
	v_or_b32_e32 v1, 4, v1
	v_subrev_nc_u32_e32 v31, s31, v13
	v_sub_nc_u32_e32 v32, v14, v29
	s_movk_i32 s30, 0xff80
	v_mov_b32_e32 v4, v7
	v_sub_nc_u32_e32 v33, v0, v29
	v_mov_b32_e32 v8, 0
	v_cmp_gt_i32_e64 s4, s9, v15
	s_lshl_b64 s[28:29], s[28:29], 7
	s_mov_b32 s31, -1
	s_lshl_b64 s[26:27], s[26:27], 7
	s_wait_alu 0xfffe
	s_add_nc_u64 s[30:31], s[28:29], s[30:31]
	s_or_b32 s38, s38, s39
	s_lshl_b64 s[14:15], s[14:15], 3
	s_lshl_b64 s[18:19], s[18:19], 3
	;; [unrolled: 1-line block ×3, first 2 shown]
	s_branch .LBB5_9
.LBB5_7:                                ;   in Loop: Header=BB5_9 Depth=1
	v_add_co_u32 v15, vcc_lo, v7, v11
	s_wait_alu 0xfffd
	v_add_co_ci_u32_e64 v16, null, v17, v12, vcc_lo
	flat_store_b64 v[15:16], v[13:14]
.LBB5_8:                                ;   in Loop: Header=BB5_9 Depth=1
	s_wait_alu 0xfffe
	s_or_b32 exec_lo, exec_lo, s5
	s_add_co_i32 s24, s24, 0x10000
	s_delay_alu instid0(SALU_CYCLE_1)
	s_cmp_lt_u32 s24, s34
	s_cbranch_scc0 .LBB5_58
.LBB5_9:                                ; =>This Loop Header: Depth=1
                                        ;     Child Loop BB5_21 Depth 2
	s_and_not1_b32 vcc_lo, exec_lo, s36
	s_mov_b32 s5, -1
	s_wait_alu 0xfffe
	s_cbranch_vccnz .LBB5_11
; %bb.10:                               ;   in Loop: Header=BB5_9 Depth=1
	s_mov_b32 s5, 0
.LBB5_11:                               ;   in Loop: Header=BB5_9 Depth=1
	v_mov_b32_e32 v19, 0
	v_dual_mov_b32 v20, 0 :: v_dual_mov_b32 v13, 0
	v_mov_b32_e32 v14, 0
	s_wait_alu 0xfffe
	s_and_not1_b32 vcc_lo, exec_lo, s5
	s_wait_alu 0xfffe
	s_cbranch_vccnz .LBB5_13
; %bb.12:                               ;   in Loop: Header=BB5_9 Depth=1
	s_lshl_b64 s[40:41], s[24:25], 3
	s_delay_alu instid0(SALU_CYCLE_1)
	s_add_nc_u64 s[40:41], s[12:13], s[40:41]
	global_load_b64 v[13:14], v8, s[40:41]
	s_wait_loadcnt 0x0
	v_add_co_u32 v13, vcc_lo, v13, s14
	s_wait_alu 0xfffd
	v_add_co_ci_u32_e64 v14, null, s15, v14, vcc_lo
.LBB5_13:                               ;   in Loop: Header=BB5_9 Depth=1
	s_and_not1_b32 vcc_lo, exec_lo, s35
	s_wait_alu 0xfffe
	s_cbranch_vccnz .LBB5_15
; %bb.14:                               ;   in Loop: Header=BB5_9 Depth=1
	s_lshl_b64 s[40:41], s[24:25], 3
	s_delay_alu instid0(SALU_CYCLE_1)
	s_add_nc_u64 s[40:41], s[16:17], s[40:41]
	s_wait_loadcnt 0x0
	global_load_b64 v[15:16], v8, s[40:41]
	s_wait_loadcnt 0x0
	v_add_co_u32 v19, vcc_lo, v15, s18
	s_wait_alu 0xfffd
	v_add_co_ci_u32_e64 v20, null, s19, v16, vcc_lo
.LBB5_15:                               ;   in Loop: Header=BB5_9 Depth=1
	s_lshl_b64 s[40:41], s[24:25], 3
	s_and_not1_b32 vcc_lo, exec_lo, s35
	s_add_nc_u64 s[40:41], s[20:21], s[40:41]
	s_wait_loadcnt 0x0
	global_load_b64 v[15:16], v8, s[40:41]
	s_wait_alu 0xfffe
	s_cbranch_vccnz .LBB5_47
; %bb.16:                               ;   in Loop: Header=BB5_9 Depth=1
	v_dual_mov_b32 v18, 0 :: v_dual_mov_b32 v17, 0
	s_and_saveexec_b32 s39, s0
	s_cbranch_execz .LBB5_46
; %bb.17:                               ;   in Loop: Header=BB5_9 Depth=1
	v_add_co_u32 v34, vcc_lo, v13, v9
	s_wait_alu 0xfffd
	v_add_co_ci_u32_e64 v35, null, v14, v10, vcc_lo
	v_add_co_u32 v19, vcc_lo, v19, v1
	v_mov_b32_e32 v22, v4
	v_dual_mov_b32 v26, v6 :: v_dual_mov_b32 v37, v29
	s_wait_alu 0xfffd
	v_add_co_ci_u32_e64 v20, null, v20, v2, vcc_lo
	v_dual_mov_b32 v18, 0 :: v_dual_mov_b32 v21, v3
	v_dual_mov_b32 v36, v33 :: v_dual_mov_b32 v23, v32
	v_mov_b32_e32 v25, v5
	v_mov_b32_e32 v17, 0
	s_mov_b32 s40, 0
	s_branch .LBB5_21
.LBB5_18:                               ;   in Loop: Header=BB5_21 Depth=2
	s_wait_alu 0xfffe
	s_or_b32 exec_lo, exec_lo, s5
.LBB5_19:                               ;   in Loop: Header=BB5_21 Depth=2
	s_delay_alu instid0(SALU_CYCLE_1)
	s_or_b32 exec_lo, exec_lo, s42
.LBB5_20:                               ;   in Loop: Header=BB5_21 Depth=2
	s_delay_alu instid0(SALU_CYCLE_1)
	s_or_b32 exec_lo, exec_lo, s41
	v_add_nc_u32_e32 v37, 16, v37
	v_add_co_u32 v19, vcc_lo, v19, s26
	s_wait_alu 0xfffd
	v_add_co_ci_u32_e64 v20, null, s27, v20, vcc_lo
	v_add_co_u32 v25, vcc_lo, v25, s28
	s_wait_alu 0xfffd
	v_add_co_ci_u32_e64 v26, null, s29, v26, vcc_lo
	v_cmp_le_i32_e32 vcc_lo, s9, v37
	v_add_co_u32 v21, s5, v21, s30
	v_add_nc_u32_e32 v23, -16, v23
	s_wait_alu 0xf1ff
	v_add_co_ci_u32_e64 v22, null, s31, v22, s5
	v_add_nc_u32_e32 v36, -16, v36
	s_or_b32 s40, vcc_lo, s40
	s_delay_alu instid0(SALU_CYCLE_1)
	s_and_not1_b32 exec_lo, exec_lo, s40
	s_cbranch_execz .LBB5_45
.LBB5_21:                               ;   Parent Loop BB5_9 Depth=1
                                        ; =>  This Inner Loop Header: Depth=2
	s_and_saveexec_b32 s41, s1
	s_cbranch_execz .LBB5_20
; %bb.22:                               ;   in Loop: Header=BB5_21 Depth=2
	v_cmp_gt_i32_e32 vcc_lo, v0, v37
	s_wait_alu 0xfffd
	v_cndmask_b32_e64 v7, 0, 1, vcc_lo
	v_cmp_lt_i32_e32 vcc_lo, v0, v37
	s_wait_alu 0xfffd
	v_cndmask_b32_e64 v24, 0, 1, vcc_lo
	s_delay_alu instid0(VALU_DEP_1) | instskip(NEXT) | instid1(VALU_DEP_1)
	v_cndmask_b32_e64 v7, v24, v7, s2
	v_and_b32_e32 v7, 1, v7
	s_delay_alu instid0(VALU_DEP_1) | instskip(SKIP_3) | instid1(SALU_CYCLE_1)
	v_cmp_eq_u32_e32 vcc_lo, 1, v7
	s_xor_b32 s5, vcc_lo, -1
	s_wait_alu 0xfffe
	s_and_saveexec_b32 s42, s5
	s_xor_b32 s42, exec_lo, s42
	s_cbranch_execz .LBB5_42
; %bb.23:                               ;   in Loop: Header=BB5_21 Depth=2
	v_add_nc_u32_e32 v7, s10, v36
	s_delay_alu instid0(VALU_DEP_1) | instskip(NEXT) | instid1(VALU_DEP_1)
	v_cndmask_b32_e64 v7, v36, v7, s2
	v_cmp_le_i32_e32 vcc_lo, s10, v7
	v_cmp_gt_i32_e64 s5, 1, v7
	s_or_b32 s5, vcc_lo, s5
	s_wait_alu 0xfffe
	s_and_saveexec_b32 s43, s5
	s_delay_alu instid0(SALU_CYCLE_1)
	s_xor_b32 s5, exec_lo, s43
	s_cbranch_execz .LBB5_39
; %bb.24:                               ;   in Loop: Header=BB5_21 Depth=2
	s_mov_b32 s43, exec_lo
	v_cmpx_ne_u32_e32 0, v7
	s_xor_b32 s43, exec_lo, s43
	s_cbranch_execz .LBB5_32
; %bb.25:                               ;   in Loop: Header=BB5_21 Depth=2
	s_mov_b32 s44, exec_lo
	v_cmpx_eq_u32_e64 s10, v7
	s_cbranch_execz .LBB5_31
; %bb.26:                               ;   in Loop: Header=BB5_21 Depth=2
	s_and_b32 vcc_lo, exec_lo, s8
	s_mov_b32 s45, -1
                                        ; implicit-def: $vgpr7
                                        ; implicit-def: $vgpr24
	s_wait_alu 0xfffe
	s_cbranch_vccz .LBB5_28
; %bb.27:                               ;   in Loop: Header=BB5_21 Depth=2
	v_add_co_u32 v27, vcc_lo, v13, v21
	s_wait_alu 0xfffd
	v_add_co_ci_u32_e64 v28, null, v14, v22, vcc_lo
	s_mov_b32 s45, 0
	flat_load_b64 v[38:39], v[19:20] offset:-4
	flat_load_b64 v[27:28], v[27:28]
	s_wait_loadcnt_dscnt 0x0
	v_mul_f32_e32 v7, v39, v28
	v_mul_f32_e32 v28, v38, v28
	s_delay_alu instid0(VALU_DEP_2) | instskip(NEXT) | instid1(VALU_DEP_2)
	v_fma_f32 v7, v38, v27, -v7
	v_fmac_f32_e32 v28, v39, v27
	s_delay_alu instid0(VALU_DEP_1)
	v_dual_add_f32 v24, v17, v7 :: v_dual_add_f32 v7, v18, v28
.LBB5_28:                               ;   in Loop: Header=BB5_21 Depth=2
	s_and_not1_b32 vcc_lo, exec_lo, s45
	s_wait_alu 0xfffe
	s_cbranch_vccnz .LBB5_30
; %bb.29:                               ;   in Loop: Header=BB5_21 Depth=2
	v_ashrrev_i32_e32 v24, 31, v23
	s_delay_alu instid0(VALU_DEP_1) | instskip(NEXT) | instid1(VALU_DEP_1)
	v_lshlrev_b64_e32 v[27:28], 3, v[23:24]
	v_add_co_u32 v7, vcc_lo, v25, v27
	s_wait_alu 0xfffd
	s_delay_alu instid0(VALU_DEP_2) | instskip(NEXT) | instid1(VALU_DEP_2)
	v_add_co_ci_u32_e64 v24, null, v26, v28, vcc_lo
	v_add_co_u32 v27, vcc_lo, v13, v7
	s_wait_alu 0xfffd
	s_delay_alu instid0(VALU_DEP_2)
	v_add_co_ci_u32_e64 v28, null, v14, v24, vcc_lo
	flat_load_b64 v[38:39], v[19:20] offset:-4
	flat_load_b32 v7, v[27:28]
	s_wait_loadcnt_dscnt 0x0
	v_fmac_f32_e32 v18, v7, v39
	v_fmac_f32_e32 v17, v7, v38
	s_delay_alu instid0(VALU_DEP_1)
	v_dual_mov_b32 v7, v18 :: v_dual_mov_b32 v24, v17
.LBB5_30:                               ;   in Loop: Header=BB5_21 Depth=2
	s_delay_alu instid0(VALU_DEP_1)
	v_dual_mov_b32 v18, v7 :: v_dual_mov_b32 v17, v24
.LBB5_31:                               ;   in Loop: Header=BB5_21 Depth=2
	s_or_b32 exec_lo, exec_lo, s44
.LBB5_32:                               ;   in Loop: Header=BB5_21 Depth=2
	s_and_not1_saveexec_b32 s43, s43
	s_cbranch_execz .LBB5_38
; %bb.33:                               ;   in Loop: Header=BB5_21 Depth=2
	v_add_co_u32 v27, vcc_lo, v13, v25
	s_wait_alu 0xfffd
	v_add_co_ci_u32_e64 v28, null, v14, v26, vcc_lo
	s_and_not1_b32 vcc_lo, exec_lo, s37
	s_mov_b32 s44, -1
                                        ; implicit-def: $vgpr24
                                        ; implicit-def: $vgpr7
	s_wait_alu 0xfffe
	s_cbranch_vccnz .LBB5_35
; %bb.34:                               ;   in Loop: Header=BB5_21 Depth=2
	flat_load_b32 v24, v[27:28]
	flat_load_b64 v[38:39], v[19:20] offset:-4
	s_mov_b32 s44, 0
	s_wait_loadcnt_dscnt 0x0
	v_fma_f32 v7, v24, v38, v17
	v_fma_f32 v24, v24, v39, v18
.LBB5_35:                               ;   in Loop: Header=BB5_21 Depth=2
	s_and_not1_b32 vcc_lo, exec_lo, s44
	s_wait_alu 0xfffe
	s_cbranch_vccnz .LBB5_37
; %bb.36:                               ;   in Loop: Header=BB5_21 Depth=2
	flat_load_b64 v[27:28], v[27:28]
	flat_load_b64 v[38:39], v[19:20] offset:-4
	s_wait_loadcnt_dscnt 0x0
	v_mul_f32_e32 v7, v39, v28
	s_delay_alu instid0(VALU_DEP_1) | instskip(NEXT) | instid1(VALU_DEP_1)
	v_fma_f32 v7, v38, v27, -v7
	v_dual_mul_f32 v24, v38, v28 :: v_dual_add_f32 v7, v17, v7
	s_delay_alu instid0(VALU_DEP_1) | instskip(NEXT) | instid1(VALU_DEP_1)
	v_fmac_f32_e32 v24, v39, v27
	v_add_f32_e32 v24, v18, v24
.LBB5_37:                               ;   in Loop: Header=BB5_21 Depth=2
	s_delay_alu instid0(VALU_DEP_1)
	v_dual_mov_b32 v18, v24 :: v_dual_mov_b32 v17, v7
.LBB5_38:                               ;   in Loop: Header=BB5_21 Depth=2
	s_or_b32 exec_lo, exec_lo, s43
.LBB5_39:                               ;   in Loop: Header=BB5_21 Depth=2
	s_wait_alu 0xfffe
	s_and_not1_saveexec_b32 s5, s5
	s_cbranch_execz .LBB5_41
; %bb.40:                               ;   in Loop: Header=BB5_21 Depth=2
	v_lshlrev_b64_e32 v[27:28], 3, v[7:8]
	s_delay_alu instid0(VALU_DEP_1) | instskip(SKIP_1) | instid1(VALU_DEP_2)
	v_add_co_u32 v7, vcc_lo, v25, v27
	s_wait_alu 0xfffd
	v_add_co_ci_u32_e64 v24, null, v26, v28, vcc_lo
	s_delay_alu instid0(VALU_DEP_2) | instskip(SKIP_1) | instid1(VALU_DEP_2)
	v_add_co_u32 v27, vcc_lo, v13, v7
	s_wait_alu 0xfffd
	v_add_co_ci_u32_e64 v28, null, v14, v24, vcc_lo
	flat_load_b64 v[38:39], v[19:20] offset:-4
	flat_load_b64 v[27:28], v[27:28]
	s_wait_loadcnt_dscnt 0x0
	v_mul_f32_e32 v7, v39, v28
	s_delay_alu instid0(VALU_DEP_1) | instskip(NEXT) | instid1(VALU_DEP_1)
	v_fma_f32 v7, v38, v27, -v7
	v_dual_mul_f32 v24, v38, v28 :: v_dual_add_f32 v17, v17, v7
	s_delay_alu instid0(VALU_DEP_1) | instskip(NEXT) | instid1(VALU_DEP_1)
	v_fmac_f32_e32 v24, v39, v27
	v_add_f32_e32 v18, v18, v24
.LBB5_41:                               ;   in Loop: Header=BB5_21 Depth=2
	s_wait_alu 0xfffe
	s_or_b32 exec_lo, exec_lo, s5
.LBB5_42:                               ;   in Loop: Header=BB5_21 Depth=2
	s_and_not1_saveexec_b32 s42, s42
	s_cbranch_execz .LBB5_19
; %bb.43:                               ;   in Loop: Header=BB5_21 Depth=2
	v_add_nc_u32_e32 v7, v31, v37
	s_delay_alu instid0(VALU_DEP_1) | instskip(SKIP_2) | instid1(SALU_CYCLE_1)
	v_cmp_ge_i32_e32 vcc_lo, s10, v7
	v_cmp_lt_i32_e64 s5, -1, v7
	s_and_b32 s43, vcc_lo, s5
	s_and_saveexec_b32 s5, s43
	s_cbranch_execz .LBB5_18
; %bb.44:                               ;   in Loop: Header=BB5_21 Depth=2
	v_lshlrev_b64_e32 v[27:28], 3, v[7:8]
	s_delay_alu instid0(VALU_DEP_1) | instskip(SKIP_1) | instid1(VALU_DEP_2)
	v_add_co_u32 v27, vcc_lo, v34, v27
	s_wait_alu 0xfffd
	v_add_co_ci_u32_e64 v28, null, v35, v28, vcc_lo
	flat_load_b64 v[38:39], v[19:20] offset:-4
	flat_load_b64 v[27:28], v[27:28]
	s_wait_loadcnt_dscnt 0x0
	v_mul_f32_e32 v24, v28, v38
	s_delay_alu instid0(VALU_DEP_1) | instskip(NEXT) | instid1(VALU_DEP_1)
	v_fma_f32 v24, v27, v39, -v24
	v_dual_mul_f32 v7, v28, v39 :: v_dual_add_f32 v18, v18, v24
	s_delay_alu instid0(VALU_DEP_1) | instskip(NEXT) | instid1(VALU_DEP_1)
	v_fmac_f32_e32 v7, v27, v38
	v_add_f32_e32 v17, v17, v7
	s_branch .LBB5_18
.LBB5_45:                               ;   in Loop: Header=BB5_9 Depth=1
	s_or_b32 exec_lo, exec_lo, s40
.LBB5_46:                               ;   in Loop: Header=BB5_9 Depth=1
	s_delay_alu instid0(SALU_CYCLE_1)
	s_or_b32 exec_lo, exec_lo, s39
	ds_store_b64 v30, v[17:18]
	s_wait_loadcnt_dscnt 0x0
	s_barrier_signal -1
	s_barrier_wait -1
	global_inv scope:SCOPE_SE
.LBB5_47:                               ;   in Loop: Header=BB5_9 Depth=1
	s_and_saveexec_b32 s5, s3
	s_cbranch_execz .LBB5_8
; %bb.48:                               ;   in Loop: Header=BB5_9 Depth=1
	s_wait_loadcnt 0x0
	v_add_co_u32 v7, vcc_lo, v15, s22
	s_wait_alu 0xfffd
	v_add_co_ci_u32_e64 v17, null, s23, v16, vcc_lo
	s_and_b32 vcc_lo, exec_lo, s36
	s_mov_b32 s39, -1
	s_wait_alu 0xfffe
	s_cbranch_vccz .LBB5_54
; %bb.49:                               ;   in Loop: Header=BB5_9 Depth=1
	s_and_saveexec_b32 s39, s4
	s_cbranch_execz .LBB5_53
; %bb.50:                               ;   in Loop: Header=BB5_9 Depth=1
	v_dual_mov_b32 v14, 0 :: v_dual_mov_b32 v13, 0
	s_and_not1_b32 vcc_lo, exec_lo, s38
	s_wait_alu 0xfffe
	s_cbranch_vccnz .LBB5_52
; %bb.51:                               ;   in Loop: Header=BB5_9 Depth=1
	v_add_co_u32 v13, vcc_lo, v7, v11
	s_wait_alu 0xfffd
	v_add_co_ci_u32_e64 v14, null, v17, v12, vcc_lo
	flat_load_b64 v[15:16], v[13:14]
	s_wait_loadcnt_dscnt 0x0
	v_mul_f32_e32 v14, s6, v16
	s_delay_alu instid0(VALU_DEP_1) | instskip(NEXT) | instid1(VALU_DEP_1)
	v_dual_mul_f32 v13, s7, v16 :: v_dual_fmac_f32 v14, s7, v15
	v_fma_f32 v13, s6, v15, -v13
.LBB5_52:                               ;   in Loop: Header=BB5_9 Depth=1
	v_add_co_u32 v15, vcc_lo, v7, v11
	s_wait_alu 0xfffd
	v_add_co_ci_u32_e64 v16, null, v17, v12, vcc_lo
	flat_store_b64 v[15:16], v[13:14]
.LBB5_53:                               ;   in Loop: Header=BB5_9 Depth=1
	s_or_b32 exec_lo, exec_lo, s39
	s_mov_b32 s39, 0
.LBB5_54:                               ;   in Loop: Header=BB5_9 Depth=1
	s_delay_alu instid0(SALU_CYCLE_1)
	s_and_not1_b32 vcc_lo, exec_lo, s39
	s_wait_alu 0xfffe
	s_cbranch_vccnz .LBB5_8
; %bb.55:                               ;   in Loop: Header=BB5_9 Depth=1
	ds_load_2addr_stride64_b64 v[13:16], v30 offset1:1
	ds_load_2addr_stride64_b64 v[18:21], v30 offset0:2 offset1:3
	ds_load_2addr_stride64_b64 v[22:25], v30 offset0:4 offset1:5
	s_wait_dscnt 0x2
	v_dual_add_f32 v26, v13, v15 :: v_dual_add_f32 v27, v14, v16
	ds_load_2addr_stride64_b64 v[13:16], v30 offset0:6 offset1:7
	s_wait_dscnt 0x2
	v_dual_add_f32 v18, v26, v18 :: v_dual_add_f32 v19, v27, v19
	s_delay_alu instid0(VALU_DEP_1) | instskip(SKIP_3) | instid1(VALU_DEP_1)
	v_dual_add_f32 v26, v18, v20 :: v_dual_add_f32 v27, v19, v21
	ds_load_2addr_stride64_b64 v[18:21], v30 offset0:8 offset1:9
	s_wait_dscnt 0x2
	v_dual_add_f32 v22, v26, v22 :: v_dual_add_f32 v23, v27, v23
	v_dual_add_f32 v26, v22, v24 :: v_dual_add_f32 v27, v23, v25
	ds_load_2addr_stride64_b64 v[22:25], v30 offset0:10 offset1:11
	s_wait_dscnt 0x2
	v_dual_add_f32 v13, v26, v13 :: v_dual_add_f32 v14, v27, v14
	s_delay_alu instid0(VALU_DEP_1) | instskip(SKIP_3) | instid1(VALU_DEP_1)
	v_dual_add_f32 v26, v13, v15 :: v_dual_add_f32 v27, v14, v16
	ds_load_2addr_stride64_b64 v[13:16], v30 offset0:12 offset1:13
	s_wait_dscnt 0x2
	v_dual_add_f32 v18, v26, v18 :: v_dual_add_f32 v19, v27, v19
	v_dual_add_f32 v26, v18, v20 :: v_dual_add_f32 v27, v19, v21
	ds_load_2addr_stride64_b64 v[18:21], v30 offset0:14 offset1:15
	s_wait_dscnt 0x2
	v_dual_add_f32 v22, v26, v22 :: v_dual_add_f32 v23, v27, v23
	s_delay_alu instid0(VALU_DEP_1) | instskip(SKIP_1) | instid1(VALU_DEP_1)
	v_dual_add_f32 v22, v22, v24 :: v_dual_add_f32 v23, v23, v25
	s_wait_dscnt 0x1
	v_dual_add_f32 v13, v22, v13 :: v_dual_add_f32 v14, v23, v14
	s_delay_alu instid0(VALU_DEP_1) | instskip(SKIP_1) | instid1(VALU_DEP_1)
	v_dual_add_f32 v13, v13, v15 :: v_dual_add_f32 v14, v14, v16
	s_wait_dscnt 0x0
	v_dual_add_f32 v13, v13, v18 :: v_dual_add_f32 v14, v14, v19
	s_delay_alu instid0(VALU_DEP_1)
	v_dual_add_f32 v15, v13, v20 :: v_dual_add_f32 v16, v14, v21
	ds_store_b64 v30, v[15:16]
	s_and_b32 exec_lo, exec_lo, s4
	s_cbranch_execz .LBB5_8
; %bb.56:                               ;   in Loop: Header=BB5_9 Depth=1
	v_mul_f32_e32 v14, s11, v16
	v_mul_f32_e32 v13, s33, v16
	s_and_not1_b32 vcc_lo, exec_lo, s38
	s_delay_alu instid0(VALU_DEP_2) | instskip(NEXT) | instid1(VALU_DEP_2)
	v_fmac_f32_e32 v14, s33, v15
	v_fma_f32 v13, v15, s11, -v13
	s_wait_alu 0xfffe
	s_cbranch_vccnz .LBB5_7
; %bb.57:                               ;   in Loop: Header=BB5_9 Depth=1
	v_add_co_u32 v15, vcc_lo, v7, v11
	s_wait_alu 0xfffd
	v_add_co_ci_u32_e64 v16, null, v17, v12, vcc_lo
	flat_load_b64 v[15:16], v[15:16]
	s_wait_loadcnt_dscnt 0x0
	v_mul_f32_e32 v18, s7, v16
	s_delay_alu instid0(VALU_DEP_1) | instskip(NEXT) | instid1(VALU_DEP_1)
	v_fma_f32 v18, s6, v15, -v18
	v_dual_mul_f32 v16, s6, v16 :: v_dual_add_f32 v13, v13, v18
	s_delay_alu instid0(VALU_DEP_1) | instskip(NEXT) | instid1(VALU_DEP_1)
	v_fmac_f32_e32 v16, s7, v15
	v_add_f32_e32 v14, v14, v16
	s_branch .LBB5_7
.LBB5_58:
	s_endpgm
	.section	.rodata,"a",@progbits
	.p2align	6, 0x0
	.amdhsa_kernel _ZL20rocblas_hbmvn_kernelILi64ELi16E19rocblas_complex_numIfEPKPKS1_PKPS1_EvbiiT1_T2_lllSA_lllS9_T3_llli
		.amdhsa_group_segment_fixed_size 8192
		.amdhsa_private_segment_fixed_size 0
		.amdhsa_kernarg_size 392
		.amdhsa_user_sgpr_count 2
		.amdhsa_user_sgpr_dispatch_ptr 0
		.amdhsa_user_sgpr_queue_ptr 0
		.amdhsa_user_sgpr_kernarg_segment_ptr 1
		.amdhsa_user_sgpr_dispatch_id 0
		.amdhsa_user_sgpr_private_segment_size 0
		.amdhsa_wavefront_size32 1
		.amdhsa_uses_dynamic_stack 0
		.amdhsa_enable_private_segment 0
		.amdhsa_system_sgpr_workgroup_id_x 1
		.amdhsa_system_sgpr_workgroup_id_y 0
		.amdhsa_system_sgpr_workgroup_id_z 1
		.amdhsa_system_sgpr_workgroup_info 0
		.amdhsa_system_vgpr_workitem_id 1
		.amdhsa_next_free_vgpr 40
		.amdhsa_next_free_sgpr 46
		.amdhsa_reserve_vcc 1
		.amdhsa_float_round_mode_32 0
		.amdhsa_float_round_mode_16_64 0
		.amdhsa_float_denorm_mode_32 3
		.amdhsa_float_denorm_mode_16_64 3
		.amdhsa_fp16_overflow 0
		.amdhsa_workgroup_processor_mode 1
		.amdhsa_memory_ordered 1
		.amdhsa_forward_progress 1
		.amdhsa_inst_pref_size 21
		.amdhsa_round_robin_scheduling 0
		.amdhsa_exception_fp_ieee_invalid_op 0
		.amdhsa_exception_fp_denorm_src 0
		.amdhsa_exception_fp_ieee_div_zero 0
		.amdhsa_exception_fp_ieee_overflow 0
		.amdhsa_exception_fp_ieee_underflow 0
		.amdhsa_exception_fp_ieee_inexact 0
		.amdhsa_exception_int_div_zero 0
	.end_amdhsa_kernel
	.section	.text._ZL20rocblas_hbmvn_kernelILi64ELi16E19rocblas_complex_numIfEPKPKS1_PKPS1_EvbiiT1_T2_lllSA_lllS9_T3_llli,"axG",@progbits,_ZL20rocblas_hbmvn_kernelILi64ELi16E19rocblas_complex_numIfEPKPKS1_PKPS1_EvbiiT1_T2_lllSA_lllS9_T3_llli,comdat
.Lfunc_end5:
	.size	_ZL20rocblas_hbmvn_kernelILi64ELi16E19rocblas_complex_numIfEPKPKS1_PKPS1_EvbiiT1_T2_lllSA_lllS9_T3_llli, .Lfunc_end5-_ZL20rocblas_hbmvn_kernelILi64ELi16E19rocblas_complex_numIfEPKPKS1_PKPS1_EvbiiT1_T2_lllSA_lllS9_T3_llli
                                        ; -- End function
	.set _ZL20rocblas_hbmvn_kernelILi64ELi16E19rocblas_complex_numIfEPKPKS1_PKPS1_EvbiiT1_T2_lllSA_lllS9_T3_llli.num_vgpr, 40
	.set _ZL20rocblas_hbmvn_kernelILi64ELi16E19rocblas_complex_numIfEPKPKS1_PKPS1_EvbiiT1_T2_lllSA_lllS9_T3_llli.num_agpr, 0
	.set _ZL20rocblas_hbmvn_kernelILi64ELi16E19rocblas_complex_numIfEPKPKS1_PKPS1_EvbiiT1_T2_lllSA_lllS9_T3_llli.numbered_sgpr, 46
	.set _ZL20rocblas_hbmvn_kernelILi64ELi16E19rocblas_complex_numIfEPKPKS1_PKPS1_EvbiiT1_T2_lllSA_lllS9_T3_llli.num_named_barrier, 0
	.set _ZL20rocblas_hbmvn_kernelILi64ELi16E19rocblas_complex_numIfEPKPKS1_PKPS1_EvbiiT1_T2_lllSA_lllS9_T3_llli.private_seg_size, 0
	.set _ZL20rocblas_hbmvn_kernelILi64ELi16E19rocblas_complex_numIfEPKPKS1_PKPS1_EvbiiT1_T2_lllSA_lllS9_T3_llli.uses_vcc, 1
	.set _ZL20rocblas_hbmvn_kernelILi64ELi16E19rocblas_complex_numIfEPKPKS1_PKPS1_EvbiiT1_T2_lllSA_lllS9_T3_llli.uses_flat_scratch, 0
	.set _ZL20rocblas_hbmvn_kernelILi64ELi16E19rocblas_complex_numIfEPKPKS1_PKPS1_EvbiiT1_T2_lllSA_lllS9_T3_llli.has_dyn_sized_stack, 0
	.set _ZL20rocblas_hbmvn_kernelILi64ELi16E19rocblas_complex_numIfEPKPKS1_PKPS1_EvbiiT1_T2_lllSA_lllS9_T3_llli.has_recursion, 0
	.set _ZL20rocblas_hbmvn_kernelILi64ELi16E19rocblas_complex_numIfEPKPKS1_PKPS1_EvbiiT1_T2_lllSA_lllS9_T3_llli.has_indirect_call, 0
	.section	.AMDGPU.csdata,"",@progbits
; Kernel info:
; codeLenInByte = 2620
; TotalNumSgprs: 48
; NumVgprs: 40
; ScratchSize: 0
; MemoryBound: 0
; FloatMode: 240
; IeeeMode: 1
; LDSByteSize: 8192 bytes/workgroup (compile time only)
; SGPRBlocks: 0
; VGPRBlocks: 4
; NumSGPRsForWavesPerEU: 48
; NumVGPRsForWavesPerEU: 40
; Occupancy: 16
; WaveLimiterHint : 1
; COMPUTE_PGM_RSRC2:SCRATCH_EN: 0
; COMPUTE_PGM_RSRC2:USER_SGPR: 2
; COMPUTE_PGM_RSRC2:TRAP_HANDLER: 0
; COMPUTE_PGM_RSRC2:TGID_X_EN: 1
; COMPUTE_PGM_RSRC2:TGID_Y_EN: 0
; COMPUTE_PGM_RSRC2:TGID_Z_EN: 1
; COMPUTE_PGM_RSRC2:TIDIG_COMP_CNT: 1
	.section	.text._ZL20rocblas_hbmvn_kernelILi64ELi16EPK19rocblas_complex_numIdEPKS3_PKPS1_EvbiiT1_T2_lllSA_lllS9_T3_llli,"axG",@progbits,_ZL20rocblas_hbmvn_kernelILi64ELi16EPK19rocblas_complex_numIdEPKS3_PKPS1_EvbiiT1_T2_lllSA_lllS9_T3_llli,comdat
	.globl	_ZL20rocblas_hbmvn_kernelILi64ELi16EPK19rocblas_complex_numIdEPKS3_PKPS1_EvbiiT1_T2_lllSA_lllS9_T3_llli ; -- Begin function _ZL20rocblas_hbmvn_kernelILi64ELi16EPK19rocblas_complex_numIdEPKS3_PKPS1_EvbiiT1_T2_lllSA_lllS9_T3_llli
	.p2align	8
	.type	_ZL20rocblas_hbmvn_kernelILi64ELi16EPK19rocblas_complex_numIdEPKS3_PKPS1_EvbiiT1_T2_lllSA_lllS9_T3_llli,@function
_ZL20rocblas_hbmvn_kernelILi64ELi16EPK19rocblas_complex_numIdEPKS3_PKPS1_EvbiiT1_T2_lllSA_lllS9_T3_llli: ; @_ZL20rocblas_hbmvn_kernelILi64ELi16EPK19rocblas_complex_numIdEPKS3_PKPS1_EvbiiT1_T2_lllSA_lllS9_T3_llli
; %bb.0:
	s_load_b64 s[2:3], s[0:1], 0x94
	s_wait_kmcnt 0x0
	s_lshr_b32 s4, s2, 16
	s_and_b32 s2, s2, 0xffff
	s_and_b32 s3, s3, 0xffff
	s_mul_i32 s4, s4, s2
	s_delay_alu instid0(SALU_CYCLE_1) | instskip(NEXT) | instid1(SALU_CYCLE_1)
	s_mul_i32 s4, s4, s3
	s_cmp_lg_u32 s4, 0x400
	s_cbranch_scc1 .LBB6_61
; %bb.1:
	s_clause 0x2
	s_load_b256 s[4:11], s[0:1], 0x10
	s_load_b256 s[12:19], s[0:1], 0x58
	s_load_b32 s33, s[0:1], 0x80
	s_wait_kmcnt 0x0
	s_load_b128 s[20:23], s[4:5], 0x0
	s_load_b128 s[24:27], s[12:13], 0x0
	s_lshr_b32 s12, ttmp7, 16
	s_wait_kmcnt 0x0
	v_cmp_neq_f64_e64 s3, s[20:21], 0
	v_cmp_neq_f64_e64 s4, s[22:23], 0
	v_cmp_neq_f64_e64 s5, s[26:27], 0
	s_or_b32 s39, s3, s4
	s_mov_b32 s4, -1
	s_and_b32 vcc_lo, exec_lo, s39
	s_mov_b32 s3, 0
	s_cbranch_vccz .LBB6_4
; %bb.2:
	s_and_not1_b32 vcc_lo, exec_lo, s4
	s_cbranch_vccz .LBB6_5
.LBB6_3:
	s_and_not1_b32 vcc_lo, exec_lo, s3
	s_cbranch_vccz .LBB6_6
	s_branch .LBB6_61
.LBB6_4:
	v_cmp_neq_f64_e64 s3, s[24:25], 1.0
	s_or_b32 s3, s3, s5
	s_cmp_lt_u32 s12, s33
	s_cselect_b32 s4, -1, 0
	s_delay_alu instid0(SALU_CYCLE_1)
	s_and_b32 s3, s3, s4
	s_cbranch_execnz .LBB6_3
.LBB6_5:
	s_cmp_lt_u32 s12, s33
	s_cselect_b32 s3, -1, 0
	s_delay_alu instid0(SALU_CYCLE_1)
	s_and_not1_b32 vcc_lo, exec_lo, s3
	s_cbranch_vccnz .LBB6_61
.LBB6_6:
	s_clause 0x1
	s_load_b96 s[36:38], s[0:1], 0x0
	s_load_b64 s[34:35], s[0:1], 0x48
	v_and_b32_e32 v1, 0x3ff, v0
	v_bfe_u32 v0, v0, 10, 10
	s_xor_b32 s42, s39, -1
	s_load_b128 s[28:31], s[0:1], 0x38
	v_cmp_neq_f64_e64 s40, s[24:25], 0
	v_cmp_neq_f64_e64 s41, s[26:27], 0
	v_mad_u32_u24 v14, v0, s2, v1
	v_mov_b32_e32 v21, 0
	s_mov_b32 s13, 0
	s_delay_alu instid0(VALU_DEP_2) | instskip(SKIP_3) | instid1(VALU_DEP_3)
	v_and_b32_e32 v18, 63, v14
	v_lshrrev_b32_e32 v40, 6, v14
	v_lshlrev_b32_e32 v41, 4, v14
	v_cmp_gt_u32_e64 s3, 64, v14
	v_mad_co_u64_u32 v[0:1], null, s10, v40, 0
	s_wait_kmcnt 0x0
	s_bitcmp1_b32 s36, 0
	v_mad_co_u64_u32 v[2:3], null, s34, v40, 0
	s_cselect_b32 s0, -1, 0
	s_delay_alu instid0(SALU_CYCLE_1)
	s_and_b32 s1, s0, exec_lo
	s_cselect_b32 s44, s38, 0
	s_lshl_b32 s45, ttmp9, 6
	s_xor_b32 s36, s0, -1
	v_or_b32_e32 v8, s45, v18
	v_add3_u32 v6, s38, s45, v18
	s_cmp_eq_u32 s38, 0
	v_add_nc_u32_e32 v15, s45, v14
	s_cselect_b32 s46, -1, 0
	v_ashrrev_i32_e32 v9, 31, v8
	v_mul_lo_u32 v10, s11, v8
	v_mad_co_u64_u32 v[4:5], null, s10, v8, 0
	v_sub_nc_u32_e32 v42, v6, v40
	s_delay_alu instid0(VALU_DEP_4) | instskip(SKIP_4) | instid1(VALU_DEP_3)
	v_mul_lo_u32 v13, s10, v9
	v_sub_nc_u32_e32 v12, v8, v40
	s_lshl_b64 s[4:5], s[10:11], 4
	v_mad_co_u64_u32 v[16:17], null, s11, v40, v[1:2]
	v_mad_co_u64_u32 v[6:7], null, s35, v40, v[3:4]
	v_cndmask_b32_e64 v43, v12, v42, s0
	v_add3_u32 v5, v5, v13, v10
	v_lshlrev_b64_e32 v[12:13], 4, v[8:9]
	s_add_nc_u64 s[4:5], s[4:5], -16
	v_ashrrev_i32_e32 v11, 31, v15
	v_mul_lo_u32 v19, s19, v15
	v_mov_b32_e32 v3, v6
	v_mov_b32_e32 v1, v16
	v_mad_co_u64_u32 v[12:13], null, v40, s4, v[12:13]
	v_mul_lo_u32 v7, s18, v11
	v_mad_co_u64_u32 v[10:11], null, s18, v15, 0
	v_cmp_gt_i32_e64 s4, s37, v15
	v_lshlrev_b64_e32 v[14:15], 4, v[2:3]
	v_sub_nc_u32_e32 v3, s44, v18
	v_mov_b32_e32 v2, v13
	v_lshlrev_b64_e32 v[16:17], 4, v[0:1]
	v_lshlrev_b64_e32 v[22:23], 4, v[4:5]
	v_cmp_gt_i32_e64 s1, s37, v40
	v_cmp_gt_i32_e64 s2, s37, v8
	v_mad_co_u64_u32 v[0:1], null, v40, s5, v[2:3]
	v_add3_u32 v11, v11, v7, v19
	v_or_b32_e32 v14, 8, v14
	s_lshl_b64 s[18:19], s[34:35], 8
	v_subrev_nc_u32_e32 v9, s45, v3
	v_or_b32_e32 v18, 8, v16
	v_mov_b32_e32 v19, v17
	s_movk_i32 s34, 0xff00
	v_mov_b32_e32 v13, v0
	s_lshl_b64 s[10:11], s[10:11], 8
	s_mov_b32 s35, -1
	s_or_b32 s43, s40, s41
	s_wait_alu 0xfffe
	s_add_nc_u64 s[34:35], s[10:11], s[34:35]
	s_or_b32 s44, s36, s46
	s_lshl_b64 s[8:9], s[8:9], 4
	s_lshl_b64 s[30:31], s[30:31], 4
	;; [unrolled: 1-line block ×3, first 2 shown]
	s_branch .LBB6_8
.LBB6_7:                                ;   in Loop: Header=BB6_8 Depth=1
	s_wait_alu 0xfffe
	s_or_b32 exec_lo, exec_lo, s5
	s_add_co_i32 s12, s12, 0x10000
	s_delay_alu instid0(SALU_CYCLE_1)
	s_cmp_lt_u32 s12, s33
	s_cbranch_scc0 .LBB6_61
.LBB6_8:                                ; =>This Loop Header: Depth=1
                                        ;     Child Loop BB6_20 Depth 2
	s_and_not1_b32 vcc_lo, exec_lo, s42
	s_mov_b32 s5, -1
	s_wait_alu 0xfffe
	s_cbranch_vccnz .LBB6_10
; %bb.9:                                ;   in Loop: Header=BB6_8 Depth=1
	s_mov_b32 s5, 0
.LBB6_10:                               ;   in Loop: Header=BB6_8 Depth=1
	v_mov_b32_e32 v24, 0
	v_dual_mov_b32 v25, 0 :: v_dual_mov_b32 v4, 0
	v_mov_b32_e32 v5, 0
	s_wait_alu 0xfffe
	s_and_not1_b32 vcc_lo, exec_lo, s5
	s_wait_alu 0xfffe
	s_cbranch_vccnz .LBB6_12
; %bb.11:                               ;   in Loop: Header=BB6_8 Depth=1
	s_lshl_b64 s[40:41], s[12:13], 3
	s_wait_alu 0xfffe
	s_add_nc_u64 s[40:41], s[6:7], s[40:41]
	global_load_b64 v[0:1], v21, s[40:41]
	s_wait_loadcnt 0x0
	v_add_co_u32 v4, vcc_lo, v0, s8
	s_wait_alu 0xfffd
	v_add_co_ci_u32_e64 v5, null, s9, v1, vcc_lo
.LBB6_12:                               ;   in Loop: Header=BB6_8 Depth=1
	s_and_not1_b32 vcc_lo, exec_lo, s39
	s_wait_alu 0xfffe
	s_cbranch_vccnz .LBB6_14
; %bb.13:                               ;   in Loop: Header=BB6_8 Depth=1
	s_lshl_b64 s[40:41], s[12:13], 3
	s_wait_alu 0xfffe
	s_add_nc_u64 s[40:41], s[28:29], s[40:41]
	global_load_b64 v[0:1], v21, s[40:41]
	s_wait_loadcnt 0x0
	v_add_co_u32 v24, vcc_lo, v0, s30
	s_wait_alu 0xfffd
	v_add_co_ci_u32_e64 v25, null, s31, v1, vcc_lo
.LBB6_14:                               ;   in Loop: Header=BB6_8 Depth=1
	s_lshl_b64 s[40:41], s[12:13], 3
	s_and_not1_b32 vcc_lo, exec_lo, s39
	s_wait_alu 0xfffe
	s_add_nc_u64 s[40:41], s[14:15], s[40:41]
	s_wait_loadcnt 0x0
	global_load_b64 v[6:7], v21, s[40:41]
	s_cbranch_vccnz .LBB6_46
; %bb.15:                               ;   in Loop: Header=BB6_8 Depth=1
	v_mov_b32_e32 v2, 0
	v_dual_mov_b32 v3, 0 :: v_dual_mov_b32 v0, 0
	v_mov_b32_e32 v1, 0
	s_and_saveexec_b32 s45, s1
	s_cbranch_execz .LBB6_45
; %bb.16:                               ;   in Loop: Header=BB6_8 Depth=1
	v_add_co_u32 v44, vcc_lo, v4, v22
	s_wait_alu 0xfffd
	v_add_co_ci_u32_e64 v45, null, v5, v23, vcc_lo
	v_add_co_u32 v24, vcc_lo, v24, v14
	v_dual_mov_b32 v28, v42 :: v_dual_mov_b32 v31, v17
	v_dual_mov_b32 v2, 0 :: v_dual_mov_b32 v27, v13
	;; [unrolled: 1-line block ×3, first 2 shown]
	v_mov_b32_e32 v0, 0
	s_wait_alu 0xfffd
	v_add_co_ci_u32_e64 v25, null, v25, v15, vcc_lo
	v_dual_mov_b32 v3, 0 :: v_dual_mov_b32 v26, v12
	v_dual_mov_b32 v32, v18 :: v_dual_mov_b32 v1, 0
	v_mov_b32_e32 v46, v40
	s_mov_b64 s[40:41], 0
	s_mov_b32 s46, 0
	s_branch .LBB6_20
.LBB6_17:                               ;   in Loop: Header=BB6_20 Depth=2
	s_wait_alu 0xfffe
	s_or_b32 exec_lo, exec_lo, s5
.LBB6_18:                               ;   in Loop: Header=BB6_20 Depth=2
	s_delay_alu instid0(SALU_CYCLE_1)
	s_or_b32 exec_lo, exec_lo, s48
.LBB6_19:                               ;   in Loop: Header=BB6_20 Depth=2
	s_delay_alu instid0(SALU_CYCLE_1)
	s_or_b32 exec_lo, exec_lo, s47
	v_add_co_u32 v24, vcc_lo, v24, s18
	v_add_nc_u32_e32 v46, 16, v46
	s_wait_alu 0xfffd
	v_add_co_ci_u32_e64 v25, null, s19, v25, vcc_lo
	v_add_co_u32 v32, vcc_lo, v32, s10
	s_wait_alu 0xfffd
	v_add_co_ci_u32_e64 v33, null, s11, v33, vcc_lo
	v_add_co_u32 v30, vcc_lo, v30, s10
	s_wait_alu 0xfffd
	v_add_co_ci_u32_e64 v31, null, s11, v31, vcc_lo
	v_cmp_le_i32_e32 vcc_lo, s37, v46
	v_add_co_u32 v26, s5, v26, s34
	v_add_nc_u32_e32 v28, -16, v28
	s_wait_alu 0xf1ff
	v_add_co_ci_u32_e64 v27, null, s35, v27, s5
	s_or_b32 s46, vcc_lo, s46
	s_wait_alu 0xfffe
	s_add_nc_u64 s[40:41], s[40:41], -16
	s_and_not1_b32 exec_lo, exec_lo, s46
	s_cbranch_execz .LBB6_44
.LBB6_20:                               ;   Parent Loop BB6_8 Depth=1
                                        ; =>  This Inner Loop Header: Depth=2
	s_and_saveexec_b32 s47, s2
	s_cbranch_execz .LBB6_19
; %bb.21:                               ;   in Loop: Header=BB6_20 Depth=2
	v_cmp_gt_i32_e32 vcc_lo, v8, v46
	s_wait_alu 0xfffd
	v_cndmask_b32_e64 v20, 0, 1, vcc_lo
	v_cmp_lt_i32_e32 vcc_lo, v8, v46
	s_wait_alu 0xfffd
	v_cndmask_b32_e64 v29, 0, 1, vcc_lo
	s_delay_alu instid0(VALU_DEP_1) | instskip(NEXT) | instid1(VALU_DEP_1)
	v_cndmask_b32_e64 v20, v29, v20, s0
	v_and_b32_e32 v20, 1, v20
	s_delay_alu instid0(VALU_DEP_1) | instskip(SKIP_3) | instid1(SALU_CYCLE_1)
	v_cmp_eq_u32_e32 vcc_lo, 1, v20
	s_xor_b32 s5, vcc_lo, -1
	s_wait_alu 0xfffe
	s_and_saveexec_b32 s48, s5
	s_xor_b32 s48, exec_lo, s48
	s_cbranch_execz .LBB6_41
; %bb.22:                               ;   in Loop: Header=BB6_20 Depth=2
	v_add_nc_u32_e32 v20, s40, v43
	s_delay_alu instid0(VALU_DEP_1) | instskip(SKIP_4) | instid1(SALU_CYCLE_1)
	v_cmp_le_i32_e32 vcc_lo, s38, v20
	v_cmp_gt_i32_e64 s5, 1, v20
	s_or_b32 s5, vcc_lo, s5
	s_wait_alu 0xfffe
	s_and_saveexec_b32 s49, s5
	s_xor_b32 s5, exec_lo, s49
	s_cbranch_execz .LBB6_38
; %bb.23:                               ;   in Loop: Header=BB6_20 Depth=2
	s_mov_b32 s49, exec_lo
	v_cmpx_ne_u32_e32 0, v20
	s_xor_b32 s49, exec_lo, s49
	s_cbranch_execz .LBB6_31
; %bb.24:                               ;   in Loop: Header=BB6_20 Depth=2
	s_mov_b32 s50, exec_lo
	v_cmpx_eq_u32_e64 s38, v20
	s_cbranch_execz .LBB6_30
; %bb.25:                               ;   in Loop: Header=BB6_20 Depth=2
	s_and_b32 vcc_lo, exec_lo, s36
	s_mov_b32 s51, -1
                                        ; implicit-def: $vgpr36_vgpr37
                                        ; implicit-def: $vgpr34_vgpr35
	s_wait_alu 0xfffe
	s_cbranch_vccz .LBB6_27
; %bb.26:                               ;   in Loop: Header=BB6_20 Depth=2
	v_add_co_u32 v38, vcc_lo, v4, v26
	s_wait_alu 0xfffd
	v_add_co_ci_u32_e64 v39, null, v5, v27, vcc_lo
	s_mov_b32 s51, 0
	flat_load_b128 v[34:37], v[24:25] offset:-8
	flat_load_b128 v[47:50], v[38:39]
	s_wait_loadcnt_dscnt 0x0
	v_mul_f64_e32 v[38:39], v[36:37], v[49:50]
	v_mul_f64_e32 v[49:50], v[34:35], v[49:50]
	s_delay_alu instid0(VALU_DEP_2) | instskip(NEXT) | instid1(VALU_DEP_2)
	v_fma_f64 v[34:35], v[34:35], v[47:48], -v[38:39]
	v_fma_f64 v[36:37], v[36:37], v[47:48], v[49:50]
	s_delay_alu instid0(VALU_DEP_2) | instskip(NEXT) | instid1(VALU_DEP_2)
	v_add_f64_e32 v[34:35], v[0:1], v[34:35]
	v_add_f64_e32 v[36:37], v[2:3], v[36:37]
.LBB6_27:                               ;   in Loop: Header=BB6_20 Depth=2
	s_and_not1_b32 vcc_lo, exec_lo, s51
	s_wait_alu 0xfffe
	s_cbranch_vccnz .LBB6_29
; %bb.28:                               ;   in Loop: Header=BB6_20 Depth=2
	v_ashrrev_i32_e32 v29, 31, v28
	s_delay_alu instid0(VALU_DEP_1) | instskip(NEXT) | instid1(VALU_DEP_1)
	v_lshlrev_b64_e32 v[34:35], 4, v[28:29]
	v_add_co_u32 v20, vcc_lo, v30, v34
	s_wait_alu 0xfffd
	s_delay_alu instid0(VALU_DEP_2) | instskip(NEXT) | instid1(VALU_DEP_2)
	v_add_co_ci_u32_e64 v29, null, v31, v35, vcc_lo
	v_add_co_u32 v38, vcc_lo, v4, v20
	s_wait_alu 0xfffd
	s_delay_alu instid0(VALU_DEP_2)
	v_add_co_ci_u32_e64 v39, null, v5, v29, vcc_lo
	flat_load_b128 v[34:37], v[24:25] offset:-8
	flat_load_b64 v[38:39], v[38:39]
	s_wait_loadcnt_dscnt 0x0
	v_fma_f64 v[34:35], v[38:39], v[34:35], v[0:1]
	v_fma_f64 v[36:37], v[38:39], v[36:37], v[2:3]
.LBB6_29:                               ;   in Loop: Header=BB6_20 Depth=2
	s_delay_alu instid0(VALU_DEP_1) | instskip(NEXT) | instid1(VALU_DEP_3)
	v_dual_mov_b32 v2, v36 :: v_dual_mov_b32 v3, v37
	v_dual_mov_b32 v0, v34 :: v_dual_mov_b32 v1, v35
.LBB6_30:                               ;   in Loop: Header=BB6_20 Depth=2
	s_or_b32 exec_lo, exec_lo, s50
.LBB6_31:                               ;   in Loop: Header=BB6_20 Depth=2
	s_and_not1_saveexec_b32 s49, s49
	s_cbranch_execz .LBB6_37
; %bb.32:                               ;   in Loop: Header=BB6_20 Depth=2
	v_add_co_u32 v34, vcc_lo, v4, v32
	s_wait_alu 0xfffd
	v_add_co_ci_u32_e64 v35, null, v5, v33, vcc_lo
	s_and_not1_b32 vcc_lo, exec_lo, s44
	s_mov_b32 s50, -1
                                        ; implicit-def: $vgpr38_vgpr39
                                        ; implicit-def: $vgpr36_vgpr37
	s_wait_alu 0xfffe
	s_cbranch_vccnz .LBB6_34
; %bb.33:                               ;   in Loop: Header=BB6_20 Depth=2
	flat_load_b64 v[47:48], v[34:35] offset:-8
	flat_load_b128 v[36:39], v[24:25] offset:-8
	s_mov_b32 s50, 0
	s_wait_loadcnt_dscnt 0x0
	v_fma_f64 v[36:37], v[47:48], v[36:37], v[0:1]
	v_fma_f64 v[38:39], v[47:48], v[38:39], v[2:3]
.LBB6_34:                               ;   in Loop: Header=BB6_20 Depth=2
	s_and_not1_b32 vcc_lo, exec_lo, s50
	s_wait_alu 0xfffe
	s_cbranch_vccnz .LBB6_36
; %bb.35:                               ;   in Loop: Header=BB6_20 Depth=2
	flat_load_b128 v[36:39], v[24:25] offset:-8
	flat_load_b128 v[47:50], v[34:35] offset:-8
	s_wait_loadcnt_dscnt 0x0
	v_mul_f64_e32 v[34:35], v[38:39], v[49:50]
	v_mul_f64_e32 v[49:50], v[36:37], v[49:50]
	s_delay_alu instid0(VALU_DEP_2) | instskip(NEXT) | instid1(VALU_DEP_2)
	v_fma_f64 v[34:35], v[36:37], v[47:48], -v[34:35]
	v_fma_f64 v[38:39], v[38:39], v[47:48], v[49:50]
	s_delay_alu instid0(VALU_DEP_2) | instskip(NEXT) | instid1(VALU_DEP_2)
	v_add_f64_e32 v[36:37], v[0:1], v[34:35]
	v_add_f64_e32 v[38:39], v[2:3], v[38:39]
.LBB6_36:                               ;   in Loop: Header=BB6_20 Depth=2
	s_delay_alu instid0(VALU_DEP_1) | instskip(NEXT) | instid1(VALU_DEP_3)
	v_dual_mov_b32 v2, v38 :: v_dual_mov_b32 v3, v39
	v_dual_mov_b32 v0, v36 :: v_dual_mov_b32 v1, v37
.LBB6_37:                               ;   in Loop: Header=BB6_20 Depth=2
	s_or_b32 exec_lo, exec_lo, s49
.LBB6_38:                               ;   in Loop: Header=BB6_20 Depth=2
	s_wait_alu 0xfffe
	s_and_not1_saveexec_b32 s5, s5
	s_cbranch_execz .LBB6_40
; %bb.39:                               ;   in Loop: Header=BB6_20 Depth=2
	v_lshlrev_b64_e32 v[34:35], 4, v[20:21]
	s_delay_alu instid0(VALU_DEP_1) | instskip(SKIP_1) | instid1(VALU_DEP_2)
	v_add_co_u32 v20, vcc_lo, v32, v34
	s_wait_alu 0xfffd
	v_add_co_ci_u32_e64 v29, null, v33, v35, vcc_lo
	s_delay_alu instid0(VALU_DEP_2) | instskip(SKIP_1) | instid1(VALU_DEP_2)
	v_add_co_u32 v38, vcc_lo, v4, v20
	s_wait_alu 0xfffd
	v_add_co_ci_u32_e64 v39, null, v5, v29, vcc_lo
	flat_load_b128 v[34:37], v[24:25] offset:-8
	flat_load_b128 v[47:50], v[38:39] offset:-8
	s_wait_loadcnt_dscnt 0x0
	v_mul_f64_e32 v[38:39], v[36:37], v[49:50]
	v_mul_f64_e32 v[49:50], v[34:35], v[49:50]
	s_delay_alu instid0(VALU_DEP_2) | instskip(NEXT) | instid1(VALU_DEP_2)
	v_fma_f64 v[34:35], v[34:35], v[47:48], -v[38:39]
	v_fma_f64 v[36:37], v[36:37], v[47:48], v[49:50]
	s_delay_alu instid0(VALU_DEP_2) | instskip(NEXT) | instid1(VALU_DEP_2)
	v_add_f64_e32 v[0:1], v[0:1], v[34:35]
	v_add_f64_e32 v[2:3], v[2:3], v[36:37]
.LBB6_40:                               ;   in Loop: Header=BB6_20 Depth=2
	s_wait_alu 0xfffe
	s_or_b32 exec_lo, exec_lo, s5
.LBB6_41:                               ;   in Loop: Header=BB6_20 Depth=2
	s_and_not1_saveexec_b32 s48, s48
	s_cbranch_execz .LBB6_18
; %bb.42:                               ;   in Loop: Header=BB6_20 Depth=2
	v_add_nc_u32_e32 v20, v9, v46
	s_delay_alu instid0(VALU_DEP_1) | instskip(SKIP_2) | instid1(SALU_CYCLE_1)
	v_cmp_ge_i32_e32 vcc_lo, s38, v20
	v_cmp_lt_i32_e64 s5, -1, v20
	s_and_b32 s49, vcc_lo, s5
	s_and_saveexec_b32 s5, s49
	s_cbranch_execz .LBB6_17
; %bb.43:                               ;   in Loop: Header=BB6_20 Depth=2
	v_lshlrev_b64_e32 v[34:35], 4, v[20:21]
	s_delay_alu instid0(VALU_DEP_1) | instskip(SKIP_1) | instid1(VALU_DEP_2)
	v_add_co_u32 v38, vcc_lo, v44, v34
	s_wait_alu 0xfffd
	v_add_co_ci_u32_e64 v39, null, v45, v35, vcc_lo
	flat_load_b128 v[34:37], v[24:25] offset:-8
	flat_load_b128 v[47:50], v[38:39]
	s_wait_loadcnt_dscnt 0x0
	v_mul_f64_e32 v[38:39], v[49:50], v[36:37]
	v_mul_f64_e32 v[49:50], v[49:50], v[34:35]
	s_delay_alu instid0(VALU_DEP_2) | instskip(NEXT) | instid1(VALU_DEP_2)
	v_fma_f64 v[34:35], v[47:48], v[34:35], v[38:39]
	v_fma_f64 v[36:37], v[47:48], v[36:37], -v[49:50]
	s_delay_alu instid0(VALU_DEP_2) | instskip(NEXT) | instid1(VALU_DEP_2)
	v_add_f64_e32 v[0:1], v[0:1], v[34:35]
	v_add_f64_e32 v[2:3], v[2:3], v[36:37]
	s_branch .LBB6_17
.LBB6_44:                               ;   in Loop: Header=BB6_8 Depth=1
	s_or_b32 exec_lo, exec_lo, s46
.LBB6_45:                               ;   in Loop: Header=BB6_8 Depth=1
	s_wait_alu 0xfffe
	s_or_b32 exec_lo, exec_lo, s45
	ds_store_b128 v41, v[0:3]
	s_wait_loadcnt_dscnt 0x0
	s_barrier_signal -1
	s_barrier_wait -1
	global_inv scope:SCOPE_SE
.LBB6_46:                               ;   in Loop: Header=BB6_8 Depth=1
	s_and_saveexec_b32 s5, s3
	s_cbranch_execz .LBB6_7
; %bb.47:                               ;   in Loop: Header=BB6_8 Depth=1
	s_wait_loadcnt 0x0
	v_add_co_u32 v20, vcc_lo, v6, s16
	s_wait_alu 0xfffd
	v_add_co_ci_u32_e64 v24, null, s17, v7, vcc_lo
	s_and_b32 vcc_lo, exec_lo, s42
	s_wait_alu 0xfffe
	s_cbranch_vccz .LBB6_53
; %bb.48:                               ;   in Loop: Header=BB6_8 Depth=1
	s_mov_b32 s41, 0
	s_mov_b32 s40, 0
                                        ; implicit-def: $vgpr2_vgpr3
	s_and_saveexec_b32 s45, s4
	s_wait_alu 0xfffe
	s_xor_b32 s45, exec_lo, s45
	s_cbranch_execz .LBB6_52
; %bb.49:                               ;   in Loop: Header=BB6_8 Depth=1
	v_mov_b32_e32 v2, 0
	v_dual_mov_b32 v3, 0 :: v_dual_mov_b32 v0, 0
	v_mov_b32_e32 v1, 0
	s_and_not1_b32 vcc_lo, exec_lo, s43
	s_wait_alu 0xfffe
	s_cbranch_vccnz .LBB6_51
; %bb.50:                               ;   in Loop: Header=BB6_8 Depth=1
	v_lshlrev_b64_e32 v[0:1], 4, v[10:11]
	s_delay_alu instid0(VALU_DEP_1) | instskip(SKIP_1) | instid1(VALU_DEP_2)
	v_add_co_u32 v0, vcc_lo, v20, v0
	s_wait_alu 0xfffd
	v_add_co_ci_u32_e64 v1, null, v24, v1, vcc_lo
	flat_load_b128 v[2:5], v[0:1]
	s_wait_loadcnt_dscnt 0x0
	v_mul_f64_e32 v[0:1], s[26:27], v[4:5]
	v_mul_f64_e32 v[4:5], s[24:25], v[4:5]
	s_delay_alu instid0(VALU_DEP_2) | instskip(NEXT) | instid1(VALU_DEP_2)
	v_fma_f64 v[0:1], s[24:25], v[2:3], -v[0:1]
	v_fma_f64 v[2:3], s[26:27], v[2:3], v[4:5]
.LBB6_51:                               ;   in Loop: Header=BB6_8 Depth=1
	s_mov_b32 s40, exec_lo
.LBB6_52:                               ;   in Loop: Header=BB6_8 Depth=1
	s_wait_alu 0xfffe
	s_or_b32 exec_lo, exec_lo, s45
	s_delay_alu instid0(SALU_CYCLE_1)
	s_and_b32 vcc_lo, exec_lo, s41
	s_wait_alu 0xfffe
	s_cbranch_vccnz .LBB6_54
	s_branch .LBB6_59
.LBB6_53:                               ;   in Loop: Header=BB6_8 Depth=1
	s_mov_b32 s40, 0
                                        ; implicit-def: $vgpr2_vgpr3
	s_cbranch_execz .LBB6_59
.LBB6_54:                               ;   in Loop: Header=BB6_8 Depth=1
	ds_load_b128 v[0:3], v41
	ds_load_b128 v[4:7], v41 offset:1024
	s_wait_dscnt 0x0
	v_add_f64_e32 v[25:26], v[0:1], v[4:5]
	v_add_f64_e32 v[27:28], v[2:3], v[6:7]
	ds_load_b128 v[0:3], v41 offset:2048
	ds_load_b128 v[4:7], v41 offset:3072
	s_wait_dscnt 0x1
	v_add_f64_e32 v[0:1], v[25:26], v[0:1]
	v_add_f64_e32 v[2:3], v[27:28], v[2:3]
	s_wait_dscnt 0x0
	s_delay_alu instid0(VALU_DEP_2) | instskip(NEXT) | instid1(VALU_DEP_2)
	v_add_f64_e32 v[25:26], v[0:1], v[4:5]
	v_add_f64_e32 v[27:28], v[2:3], v[6:7]
	ds_load_b128 v[0:3], v41 offset:4096
	ds_load_b128 v[4:7], v41 offset:5120
	s_wait_dscnt 0x1
	v_add_f64_e32 v[0:1], v[25:26], v[0:1]
	v_add_f64_e32 v[2:3], v[27:28], v[2:3]
	s_wait_dscnt 0x0
	s_delay_alu instid0(VALU_DEP_2) | instskip(NEXT) | instid1(VALU_DEP_2)
	;; [unrolled: 9-line block ×7, first 2 shown]
	v_add_f64_e32 v[4:5], v[0:1], v[4:5]
	v_add_f64_e32 v[6:7], v[2:3], v[6:7]
                                        ; implicit-def: $vgpr2_vgpr3
	ds_store_b128 v41, v[4:7]
	s_and_saveexec_b32 s41, s4
	s_cbranch_execz .LBB6_58
; %bb.55:                               ;   in Loop: Header=BB6_8 Depth=1
	v_mul_f64_e32 v[0:1], s[22:23], v[6:7]
	v_mul_f64_e32 v[2:3], s[20:21], v[6:7]
	s_and_not1_b32 vcc_lo, exec_lo, s43
	s_delay_alu instid0(VALU_DEP_2) | instskip(NEXT) | instid1(VALU_DEP_2)
	v_fma_f64 v[0:1], s[20:21], v[4:5], -v[0:1]
	v_fma_f64 v[2:3], s[22:23], v[4:5], v[2:3]
	s_wait_alu 0xfffe
	s_cbranch_vccnz .LBB6_57
; %bb.56:                               ;   in Loop: Header=BB6_8 Depth=1
	v_lshlrev_b64_e32 v[4:5], 4, v[10:11]
	s_delay_alu instid0(VALU_DEP_1) | instskip(SKIP_1) | instid1(VALU_DEP_2)
	v_add_co_u32 v4, vcc_lo, v20, v4
	s_wait_alu 0xfffd
	v_add_co_ci_u32_e64 v5, null, v24, v5, vcc_lo
	flat_load_b128 v[4:7], v[4:5]
	s_wait_loadcnt_dscnt 0x0
	v_mul_f64_e32 v[25:26], s[26:27], v[6:7]
	v_mul_f64_e32 v[6:7], s[24:25], v[6:7]
	s_delay_alu instid0(VALU_DEP_2) | instskip(NEXT) | instid1(VALU_DEP_2)
	v_fma_f64 v[25:26], s[24:25], v[4:5], -v[25:26]
	v_fma_f64 v[4:5], s[26:27], v[4:5], v[6:7]
	s_delay_alu instid0(VALU_DEP_2) | instskip(NEXT) | instid1(VALU_DEP_2)
	v_add_f64_e32 v[0:1], v[0:1], v[25:26]
	v_add_f64_e32 v[2:3], v[2:3], v[4:5]
.LBB6_57:                               ;   in Loop: Header=BB6_8 Depth=1
	s_or_b32 s40, s40, exec_lo
.LBB6_58:                               ;   in Loop: Header=BB6_8 Depth=1
	s_wait_alu 0xfffe
	s_or_b32 exec_lo, exec_lo, s41
.LBB6_59:                               ;   in Loop: Header=BB6_8 Depth=1
	s_wait_alu 0xfffe
	s_and_b32 exec_lo, exec_lo, s40
	s_cbranch_execz .LBB6_7
; %bb.60:                               ;   in Loop: Header=BB6_8 Depth=1
	v_lshlrev_b64_e32 v[4:5], 4, v[10:11]
	s_delay_alu instid0(VALU_DEP_1) | instskip(SKIP_1) | instid1(VALU_DEP_2)
	v_add_co_u32 v4, vcc_lo, v20, v4
	s_wait_alu 0xfffd
	v_add_co_ci_u32_e64 v5, null, v24, v5, vcc_lo
	flat_store_b128 v[4:5], v[0:3]
	s_branch .LBB6_7
.LBB6_61:
	s_endpgm
	.section	.rodata,"a",@progbits
	.p2align	6, 0x0
	.amdhsa_kernel _ZL20rocblas_hbmvn_kernelILi64ELi16EPK19rocblas_complex_numIdEPKS3_PKPS1_EvbiiT1_T2_lllSA_lllS9_T3_llli
		.amdhsa_group_segment_fixed_size 16384
		.amdhsa_private_segment_fixed_size 0
		.amdhsa_kernarg_size 392
		.amdhsa_user_sgpr_count 2
		.amdhsa_user_sgpr_dispatch_ptr 0
		.amdhsa_user_sgpr_queue_ptr 0
		.amdhsa_user_sgpr_kernarg_segment_ptr 1
		.amdhsa_user_sgpr_dispatch_id 0
		.amdhsa_user_sgpr_private_segment_size 0
		.amdhsa_wavefront_size32 1
		.amdhsa_uses_dynamic_stack 0
		.amdhsa_enable_private_segment 0
		.amdhsa_system_sgpr_workgroup_id_x 1
		.amdhsa_system_sgpr_workgroup_id_y 0
		.amdhsa_system_sgpr_workgroup_id_z 1
		.amdhsa_system_sgpr_workgroup_info 0
		.amdhsa_system_vgpr_workitem_id 1
		.amdhsa_next_free_vgpr 51
		.amdhsa_next_free_sgpr 52
		.amdhsa_reserve_vcc 1
		.amdhsa_float_round_mode_32 0
		.amdhsa_float_round_mode_16_64 0
		.amdhsa_float_denorm_mode_32 3
		.amdhsa_float_denorm_mode_16_64 3
		.amdhsa_fp16_overflow 0
		.amdhsa_workgroup_processor_mode 1
		.amdhsa_memory_ordered 1
		.amdhsa_forward_progress 1
		.amdhsa_inst_pref_size 23
		.amdhsa_round_robin_scheduling 0
		.amdhsa_exception_fp_ieee_invalid_op 0
		.amdhsa_exception_fp_denorm_src 0
		.amdhsa_exception_fp_ieee_div_zero 0
		.amdhsa_exception_fp_ieee_overflow 0
		.amdhsa_exception_fp_ieee_underflow 0
		.amdhsa_exception_fp_ieee_inexact 0
		.amdhsa_exception_int_div_zero 0
	.end_amdhsa_kernel
	.section	.text._ZL20rocblas_hbmvn_kernelILi64ELi16EPK19rocblas_complex_numIdEPKS3_PKPS1_EvbiiT1_T2_lllSA_lllS9_T3_llli,"axG",@progbits,_ZL20rocblas_hbmvn_kernelILi64ELi16EPK19rocblas_complex_numIdEPKS3_PKPS1_EvbiiT1_T2_lllSA_lllS9_T3_llli,comdat
.Lfunc_end6:
	.size	_ZL20rocblas_hbmvn_kernelILi64ELi16EPK19rocblas_complex_numIdEPKS3_PKPS1_EvbiiT1_T2_lllSA_lllS9_T3_llli, .Lfunc_end6-_ZL20rocblas_hbmvn_kernelILi64ELi16EPK19rocblas_complex_numIdEPKS3_PKPS1_EvbiiT1_T2_lllSA_lllS9_T3_llli
                                        ; -- End function
	.set _ZL20rocblas_hbmvn_kernelILi64ELi16EPK19rocblas_complex_numIdEPKS3_PKPS1_EvbiiT1_T2_lllSA_lllS9_T3_llli.num_vgpr, 51
	.set _ZL20rocblas_hbmvn_kernelILi64ELi16EPK19rocblas_complex_numIdEPKS3_PKPS1_EvbiiT1_T2_lllSA_lllS9_T3_llli.num_agpr, 0
	.set _ZL20rocblas_hbmvn_kernelILi64ELi16EPK19rocblas_complex_numIdEPKS3_PKPS1_EvbiiT1_T2_lllSA_lllS9_T3_llli.numbered_sgpr, 52
	.set _ZL20rocblas_hbmvn_kernelILi64ELi16EPK19rocblas_complex_numIdEPKS3_PKPS1_EvbiiT1_T2_lllSA_lllS9_T3_llli.num_named_barrier, 0
	.set _ZL20rocblas_hbmvn_kernelILi64ELi16EPK19rocblas_complex_numIdEPKS3_PKPS1_EvbiiT1_T2_lllSA_lllS9_T3_llli.private_seg_size, 0
	.set _ZL20rocblas_hbmvn_kernelILi64ELi16EPK19rocblas_complex_numIdEPKS3_PKPS1_EvbiiT1_T2_lllSA_lllS9_T3_llli.uses_vcc, 1
	.set _ZL20rocblas_hbmvn_kernelILi64ELi16EPK19rocblas_complex_numIdEPKS3_PKPS1_EvbiiT1_T2_lllSA_lllS9_T3_llli.uses_flat_scratch, 0
	.set _ZL20rocblas_hbmvn_kernelILi64ELi16EPK19rocblas_complex_numIdEPKS3_PKPS1_EvbiiT1_T2_lllSA_lllS9_T3_llli.has_dyn_sized_stack, 0
	.set _ZL20rocblas_hbmvn_kernelILi64ELi16EPK19rocblas_complex_numIdEPKS3_PKPS1_EvbiiT1_T2_lllSA_lllS9_T3_llli.has_recursion, 0
	.set _ZL20rocblas_hbmvn_kernelILi64ELi16EPK19rocblas_complex_numIdEPKS3_PKPS1_EvbiiT1_T2_lllSA_lllS9_T3_llli.has_indirect_call, 0
	.section	.AMDGPU.csdata,"",@progbits
; Kernel info:
; codeLenInByte = 2824
; TotalNumSgprs: 54
; NumVgprs: 51
; ScratchSize: 0
; MemoryBound: 1
; FloatMode: 240
; IeeeMode: 1
; LDSByteSize: 16384 bytes/workgroup (compile time only)
; SGPRBlocks: 0
; VGPRBlocks: 6
; NumSGPRsForWavesPerEU: 54
; NumVGPRsForWavesPerEU: 51
; Occupancy: 16
; WaveLimiterHint : 1
; COMPUTE_PGM_RSRC2:SCRATCH_EN: 0
; COMPUTE_PGM_RSRC2:USER_SGPR: 2
; COMPUTE_PGM_RSRC2:TRAP_HANDLER: 0
; COMPUTE_PGM_RSRC2:TGID_X_EN: 1
; COMPUTE_PGM_RSRC2:TGID_Y_EN: 0
; COMPUTE_PGM_RSRC2:TGID_Z_EN: 1
; COMPUTE_PGM_RSRC2:TIDIG_COMP_CNT: 1
	.section	.text._ZL20rocblas_hbmvn_kernelILi64ELi16E19rocblas_complex_numIdEPKPKS1_PKPS1_EvbiiT1_T2_lllSA_lllS9_T3_llli,"axG",@progbits,_ZL20rocblas_hbmvn_kernelILi64ELi16E19rocblas_complex_numIdEPKPKS1_PKPS1_EvbiiT1_T2_lllSA_lllS9_T3_llli,comdat
	.globl	_ZL20rocblas_hbmvn_kernelILi64ELi16E19rocblas_complex_numIdEPKPKS1_PKPS1_EvbiiT1_T2_lllSA_lllS9_T3_llli ; -- Begin function _ZL20rocblas_hbmvn_kernelILi64ELi16E19rocblas_complex_numIdEPKPKS1_PKPS1_EvbiiT1_T2_lllSA_lllS9_T3_llli
	.p2align	8
	.type	_ZL20rocblas_hbmvn_kernelILi64ELi16E19rocblas_complex_numIdEPKPKS1_PKPS1_EvbiiT1_T2_lllSA_lllS9_T3_llli,@function
_ZL20rocblas_hbmvn_kernelILi64ELi16E19rocblas_complex_numIdEPKPKS1_PKPS1_EvbiiT1_T2_lllSA_lllS9_T3_llli: ; @_ZL20rocblas_hbmvn_kernelILi64ELi16E19rocblas_complex_numIdEPKPKS1_PKPS1_EvbiiT1_T2_lllSA_lllS9_T3_llli
; %bb.0:
	s_load_b64 s[2:3], s[0:1], 0xa4
	s_wait_kmcnt 0x0
	s_lshr_b32 s4, s2, 16
	s_and_b32 s2, s2, 0xffff
	s_and_b32 s3, s3, 0xffff
	s_mul_i32 s4, s4, s2
	s_delay_alu instid0(SALU_CYCLE_1) | instskip(NEXT) | instid1(SALU_CYCLE_1)
	s_mul_i32 s4, s4, s3
	s_cmp_lg_u32 s4, 0x400
	s_cbranch_scc1 .LBB7_61
; %bb.1:
	s_clause 0x2
	s_load_b256 s[8:15], s[0:1], 0x10
	s_load_b256 s[16:23], s[0:1], 0x60
	s_load_b32 s31, s[0:1], 0x90
	s_lshr_b32 s6, ttmp7, 16
	s_wait_kmcnt 0x0
	v_cmp_neq_f64_e64 s3, s[8:9], 0
	v_cmp_neq_f64_e64 s4, s[10:11], 0
	v_cmp_neq_f64_e64 s5, s[18:19], 0
	s_or_b32 s33, s3, s4
	s_mov_b32 s4, -1
	s_and_b32 vcc_lo, exec_lo, s33
	s_mov_b32 s3, 0
	s_cbranch_vccz .LBB7_4
; %bb.2:
	s_and_not1_b32 vcc_lo, exec_lo, s4
	s_cbranch_vccz .LBB7_5
.LBB7_3:
	s_and_not1_b32 vcc_lo, exec_lo, s3
	s_cbranch_vccz .LBB7_6
	s_branch .LBB7_61
.LBB7_4:
	v_cmp_neq_f64_e64 s3, s[16:17], 1.0
	s_or_b32 s3, s3, s5
	s_cmp_lt_u32 s6, s31
	s_cselect_b32 s4, -1, 0
	s_delay_alu instid0(SALU_CYCLE_1)
	s_and_b32 s3, s3, s4
	s_cbranch_execnz .LBB7_3
.LBB7_5:
	s_cmp_lt_u32 s6, s31
	s_cselect_b32 s3, -1, 0
	s_delay_alu instid0(SALU_CYCLE_1)
	s_and_not1_b32 vcc_lo, exec_lo, s3
	s_cbranch_vccnz .LBB7_61
.LBB7_6:
	s_clause 0x3
	s_load_b96 s[28:30], s[0:1], 0x0
	s_load_b64 s[34:35], s[0:1], 0x50
	s_load_b64 s[36:37], s[0:1], 0x30
	;; [unrolled: 1-line block ×3, first 2 shown]
	v_and_b32_e32 v1, 0x3ff, v0
	v_bfe_u32 v0, v0, 10, 10
	s_xor_b32 s42, s33, -1
	s_load_b128 s[24:27], s[0:1], 0x40
	v_cmp_neq_f64_e64 s38, s[16:17], 0
	v_cmp_neq_f64_e64 s39, s[18:19], 0
	v_mad_u32_u24 v14, v0, s2, v1
	v_mov_b32_e32 v21, 0
	s_mov_b32 s7, 0
	s_delay_alu instid0(VALU_DEP_2)
	v_lshrrev_b32_e32 v40, 6, v14
	v_lshlrev_b32_e32 v41, 4, v14
	v_cmp_gt_u32_e64 s3, 64, v14
	s_wait_kmcnt 0x0
	s_bitcmp1_b32 s28, 0
	v_mad_co_u64_u32 v[2:3], null, s36, v40, 0
	v_and_b32_e32 v18, 63, v14
	s_cselect_b32 s0, -1, 0
	v_mad_co_u64_u32 v[0:1], null, s34, v40, 0
	s_and_b32 s1, s0, exec_lo
	s_cselect_b32 s40, s30, 0
	s_lshl_b32 s41, ttmp9, 6
	s_xor_b32 s28, s0, -1
	v_or_b32_e32 v8, s41, v18
	v_add3_u32 v4, s30, s41, v18
	v_add_nc_u32_e32 v15, s41, v14
	s_cmp_eq_u32 s30, 0
	v_cmp_gt_i32_e64 s1, s29, v40
	v_ashrrev_i32_e32 v9, 31, v8
	v_mul_lo_u32 v6, s37, v8
	v_sub_nc_u32_e32 v42, v4, v40
	v_mad_co_u64_u32 v[4:5], null, s36, v8, 0
	s_delay_alu instid0(VALU_DEP_4)
	v_mul_lo_u32 v10, s36, v9
	v_sub_nc_u32_e32 v7, v8, v40
	v_ashrrev_i32_e32 v11, 31, v15
	v_lshlrev_b64_e32 v[12:13], 4, v[8:9]
	v_mul_lo_u32 v19, s5, v15
	s_cselect_b32 s44, -1, 0
	v_cndmask_b32_e64 v43, v7, v42, s0
	v_mul_lo_u32 v20, s4, v11
	v_add3_u32 v5, v5, v10, v6
	v_mad_co_u64_u32 v[6:7], null, s35, v40, v[1:2]
	v_mad_co_u64_u32 v[10:11], null, s4, v15, 0
	s_lshl_b64 s[4:5], s[36:37], 4
	v_mov_b32_e32 v1, v3
	s_wait_alu 0xfffe
	s_add_nc_u64 s[4:5], s[4:5], -16
	v_lshlrev_b64_e32 v[22:23], 4, v[4:5]
	s_wait_alu 0xfffe
	v_mad_co_u64_u32 v[12:13], null, v40, s4, v[12:13]
	v_mad_co_u64_u32 v[16:17], null, s37, v40, v[1:2]
	v_mov_b32_e32 v1, v6
	v_cmp_gt_i32_e64 s4, s29, v15
	v_sub_nc_u32_e32 v6, s40, v18
	v_cmp_gt_i32_e64 s2, s29, v8
	s_or_b32 s43, s38, s39
	v_lshlrev_b64_e32 v[14:15], 4, v[0:1]
	v_dual_mov_b32 v0, v13 :: v_dual_mov_b32 v3, v16
	v_add3_u32 v11, v11, v20, v19
	v_subrev_nc_u32_e32 v9, s41, v6
	s_movk_i32 s38, 0xff00
	s_delay_alu instid0(VALU_DEP_3)
	v_mad_co_u64_u32 v[0:1], null, v40, s5, v[0:1]
	v_lshlrev_b64_e32 v[16:17], 4, v[2:3]
	v_or_b32_e32 v14, 8, v14
	s_lshl_b64 s[36:37], s[36:37], 8
	s_mov_b32 s39, -1
	s_lshl_b64 s[34:35], s[34:35], 8
	s_wait_alu 0xfffe
	s_add_nc_u64 s[38:39], s[36:37], s[38:39]
	v_or_b32_e32 v18, 8, v16
	v_mov_b32_e32 v19, v17
	v_mov_b32_e32 v13, v0
	s_or_b32 s44, s28, s44
	s_lshl_b64 s[14:15], s[14:15], 4
	s_lshl_b64 s[26:27], s[26:27], 4
	;; [unrolled: 1-line block ×3, first 2 shown]
	s_branch .LBB7_8
.LBB7_7:                                ;   in Loop: Header=BB7_8 Depth=1
	s_wait_alu 0xfffe
	s_or_b32 exec_lo, exec_lo, s5
	s_add_co_i32 s6, s6, 0x10000
	s_delay_alu instid0(SALU_CYCLE_1)
	s_cmp_lt_u32 s6, s31
	s_cbranch_scc0 .LBB7_61
.LBB7_8:                                ; =>This Loop Header: Depth=1
                                        ;     Child Loop BB7_20 Depth 2
	s_and_not1_b32 vcc_lo, exec_lo, s42
	s_mov_b32 s5, -1
	s_wait_alu 0xfffe
	s_cbranch_vccnz .LBB7_10
; %bb.9:                                ;   in Loop: Header=BB7_8 Depth=1
	s_mov_b32 s5, 0
.LBB7_10:                               ;   in Loop: Header=BB7_8 Depth=1
	v_mov_b32_e32 v24, 0
	v_dual_mov_b32 v25, 0 :: v_dual_mov_b32 v4, 0
	v_mov_b32_e32 v5, 0
	s_wait_alu 0xfffe
	s_and_not1_b32 vcc_lo, exec_lo, s5
	s_wait_alu 0xfffe
	s_cbranch_vccnz .LBB7_12
; %bb.11:                               ;   in Loop: Header=BB7_8 Depth=1
	s_lshl_b64 s[40:41], s[6:7], 3
	s_wait_alu 0xfffe
	s_add_nc_u64 s[40:41], s[12:13], s[40:41]
	global_load_b64 v[0:1], v21, s[40:41]
	s_wait_loadcnt 0x0
	v_add_co_u32 v4, vcc_lo, v0, s14
	s_wait_alu 0xfffd
	v_add_co_ci_u32_e64 v5, null, s15, v1, vcc_lo
.LBB7_12:                               ;   in Loop: Header=BB7_8 Depth=1
	s_and_not1_b32 vcc_lo, exec_lo, s33
	s_wait_alu 0xfffe
	s_cbranch_vccnz .LBB7_14
; %bb.13:                               ;   in Loop: Header=BB7_8 Depth=1
	s_lshl_b64 s[40:41], s[6:7], 3
	s_wait_alu 0xfffe
	s_add_nc_u64 s[40:41], s[24:25], s[40:41]
	global_load_b64 v[0:1], v21, s[40:41]
	s_wait_loadcnt 0x0
	v_add_co_u32 v24, vcc_lo, v0, s26
	s_wait_alu 0xfffd
	v_add_co_ci_u32_e64 v25, null, s27, v1, vcc_lo
.LBB7_14:                               ;   in Loop: Header=BB7_8 Depth=1
	s_lshl_b64 s[40:41], s[6:7], 3
	s_and_not1_b32 vcc_lo, exec_lo, s33
	s_wait_alu 0xfffe
	s_add_nc_u64 s[40:41], s[20:21], s[40:41]
	s_wait_loadcnt 0x0
	global_load_b64 v[6:7], v21, s[40:41]
	s_cbranch_vccnz .LBB7_46
; %bb.15:                               ;   in Loop: Header=BB7_8 Depth=1
	v_mov_b32_e32 v2, 0
	v_dual_mov_b32 v3, 0 :: v_dual_mov_b32 v0, 0
	v_mov_b32_e32 v1, 0
	s_and_saveexec_b32 s45, s1
	s_cbranch_execz .LBB7_45
; %bb.16:                               ;   in Loop: Header=BB7_8 Depth=1
	v_add_co_u32 v44, vcc_lo, v4, v22
	s_wait_alu 0xfffd
	v_add_co_ci_u32_e64 v45, null, v5, v23, vcc_lo
	v_add_co_u32 v24, vcc_lo, v24, v14
	v_dual_mov_b32 v28, v42 :: v_dual_mov_b32 v31, v17
	v_dual_mov_b32 v2, 0 :: v_dual_mov_b32 v27, v13
	;; [unrolled: 1-line block ×3, first 2 shown]
	v_mov_b32_e32 v0, 0
	s_wait_alu 0xfffd
	v_add_co_ci_u32_e64 v25, null, v25, v15, vcc_lo
	v_dual_mov_b32 v3, 0 :: v_dual_mov_b32 v26, v12
	v_dual_mov_b32 v32, v18 :: v_dual_mov_b32 v1, 0
	v_mov_b32_e32 v46, v40
	s_mov_b64 s[40:41], 0
	s_mov_b32 s46, 0
	s_branch .LBB7_20
.LBB7_17:                               ;   in Loop: Header=BB7_20 Depth=2
	s_wait_alu 0xfffe
	s_or_b32 exec_lo, exec_lo, s5
.LBB7_18:                               ;   in Loop: Header=BB7_20 Depth=2
	s_delay_alu instid0(SALU_CYCLE_1)
	s_or_b32 exec_lo, exec_lo, s48
.LBB7_19:                               ;   in Loop: Header=BB7_20 Depth=2
	s_delay_alu instid0(SALU_CYCLE_1)
	s_or_b32 exec_lo, exec_lo, s47
	v_add_co_u32 v24, vcc_lo, v24, s34
	v_add_nc_u32_e32 v46, 16, v46
	s_wait_alu 0xfffd
	v_add_co_ci_u32_e64 v25, null, s35, v25, vcc_lo
	v_add_co_u32 v32, vcc_lo, v32, s36
	s_wait_alu 0xfffd
	v_add_co_ci_u32_e64 v33, null, s37, v33, vcc_lo
	v_add_co_u32 v30, vcc_lo, v30, s36
	s_wait_alu 0xfffd
	v_add_co_ci_u32_e64 v31, null, s37, v31, vcc_lo
	v_cmp_le_i32_e32 vcc_lo, s29, v46
	v_add_co_u32 v26, s5, v26, s38
	v_add_nc_u32_e32 v28, -16, v28
	s_wait_alu 0xf1ff
	v_add_co_ci_u32_e64 v27, null, s39, v27, s5
	s_or_b32 s46, vcc_lo, s46
	s_wait_alu 0xfffe
	s_add_nc_u64 s[40:41], s[40:41], -16
	s_and_not1_b32 exec_lo, exec_lo, s46
	s_cbranch_execz .LBB7_44
.LBB7_20:                               ;   Parent Loop BB7_8 Depth=1
                                        ; =>  This Inner Loop Header: Depth=2
	s_and_saveexec_b32 s47, s2
	s_cbranch_execz .LBB7_19
; %bb.21:                               ;   in Loop: Header=BB7_20 Depth=2
	v_cmp_gt_i32_e32 vcc_lo, v8, v46
	s_wait_alu 0xfffd
	v_cndmask_b32_e64 v20, 0, 1, vcc_lo
	v_cmp_lt_i32_e32 vcc_lo, v8, v46
	s_wait_alu 0xfffd
	v_cndmask_b32_e64 v29, 0, 1, vcc_lo
	s_delay_alu instid0(VALU_DEP_1) | instskip(NEXT) | instid1(VALU_DEP_1)
	v_cndmask_b32_e64 v20, v29, v20, s0
	v_and_b32_e32 v20, 1, v20
	s_delay_alu instid0(VALU_DEP_1) | instskip(SKIP_3) | instid1(SALU_CYCLE_1)
	v_cmp_eq_u32_e32 vcc_lo, 1, v20
	s_xor_b32 s5, vcc_lo, -1
	s_wait_alu 0xfffe
	s_and_saveexec_b32 s48, s5
	s_xor_b32 s48, exec_lo, s48
	s_cbranch_execz .LBB7_41
; %bb.22:                               ;   in Loop: Header=BB7_20 Depth=2
	v_add_nc_u32_e32 v20, s40, v43
	s_delay_alu instid0(VALU_DEP_1) | instskip(SKIP_4) | instid1(SALU_CYCLE_1)
	v_cmp_le_i32_e32 vcc_lo, s30, v20
	v_cmp_gt_i32_e64 s5, 1, v20
	s_or_b32 s5, vcc_lo, s5
	s_wait_alu 0xfffe
	s_and_saveexec_b32 s49, s5
	s_xor_b32 s5, exec_lo, s49
	s_cbranch_execz .LBB7_38
; %bb.23:                               ;   in Loop: Header=BB7_20 Depth=2
	s_mov_b32 s49, exec_lo
	v_cmpx_ne_u32_e32 0, v20
	s_xor_b32 s49, exec_lo, s49
	s_cbranch_execz .LBB7_31
; %bb.24:                               ;   in Loop: Header=BB7_20 Depth=2
	s_mov_b32 s50, exec_lo
	v_cmpx_eq_u32_e64 s30, v20
	s_cbranch_execz .LBB7_30
; %bb.25:                               ;   in Loop: Header=BB7_20 Depth=2
	s_and_b32 vcc_lo, exec_lo, s28
	s_mov_b32 s51, -1
                                        ; implicit-def: $vgpr36_vgpr37
                                        ; implicit-def: $vgpr34_vgpr35
	s_wait_alu 0xfffe
	s_cbranch_vccz .LBB7_27
; %bb.26:                               ;   in Loop: Header=BB7_20 Depth=2
	v_add_co_u32 v38, vcc_lo, v4, v26
	s_wait_alu 0xfffd
	v_add_co_ci_u32_e64 v39, null, v5, v27, vcc_lo
	s_mov_b32 s51, 0
	flat_load_b128 v[34:37], v[24:25] offset:-8
	flat_load_b128 v[47:50], v[38:39]
	s_wait_loadcnt_dscnt 0x0
	v_mul_f64_e32 v[38:39], v[36:37], v[49:50]
	v_mul_f64_e32 v[49:50], v[34:35], v[49:50]
	s_delay_alu instid0(VALU_DEP_2) | instskip(NEXT) | instid1(VALU_DEP_2)
	v_fma_f64 v[34:35], v[34:35], v[47:48], -v[38:39]
	v_fma_f64 v[36:37], v[36:37], v[47:48], v[49:50]
	s_delay_alu instid0(VALU_DEP_2) | instskip(NEXT) | instid1(VALU_DEP_2)
	v_add_f64_e32 v[34:35], v[0:1], v[34:35]
	v_add_f64_e32 v[36:37], v[2:3], v[36:37]
.LBB7_27:                               ;   in Loop: Header=BB7_20 Depth=2
	s_and_not1_b32 vcc_lo, exec_lo, s51
	s_wait_alu 0xfffe
	s_cbranch_vccnz .LBB7_29
; %bb.28:                               ;   in Loop: Header=BB7_20 Depth=2
	v_ashrrev_i32_e32 v29, 31, v28
	s_delay_alu instid0(VALU_DEP_1) | instskip(NEXT) | instid1(VALU_DEP_1)
	v_lshlrev_b64_e32 v[34:35], 4, v[28:29]
	v_add_co_u32 v20, vcc_lo, v30, v34
	s_wait_alu 0xfffd
	s_delay_alu instid0(VALU_DEP_2) | instskip(NEXT) | instid1(VALU_DEP_2)
	v_add_co_ci_u32_e64 v29, null, v31, v35, vcc_lo
	v_add_co_u32 v38, vcc_lo, v4, v20
	s_wait_alu 0xfffd
	s_delay_alu instid0(VALU_DEP_2)
	v_add_co_ci_u32_e64 v39, null, v5, v29, vcc_lo
	flat_load_b128 v[34:37], v[24:25] offset:-8
	flat_load_b64 v[38:39], v[38:39]
	s_wait_loadcnt_dscnt 0x0
	v_fma_f64 v[34:35], v[38:39], v[34:35], v[0:1]
	v_fma_f64 v[36:37], v[38:39], v[36:37], v[2:3]
.LBB7_29:                               ;   in Loop: Header=BB7_20 Depth=2
	s_delay_alu instid0(VALU_DEP_1) | instskip(NEXT) | instid1(VALU_DEP_3)
	v_dual_mov_b32 v2, v36 :: v_dual_mov_b32 v3, v37
	v_dual_mov_b32 v0, v34 :: v_dual_mov_b32 v1, v35
.LBB7_30:                               ;   in Loop: Header=BB7_20 Depth=2
	s_or_b32 exec_lo, exec_lo, s50
.LBB7_31:                               ;   in Loop: Header=BB7_20 Depth=2
	s_and_not1_saveexec_b32 s49, s49
	s_cbranch_execz .LBB7_37
; %bb.32:                               ;   in Loop: Header=BB7_20 Depth=2
	v_add_co_u32 v34, vcc_lo, v4, v32
	s_wait_alu 0xfffd
	v_add_co_ci_u32_e64 v35, null, v5, v33, vcc_lo
	s_and_not1_b32 vcc_lo, exec_lo, s44
	s_mov_b32 s50, -1
                                        ; implicit-def: $vgpr38_vgpr39
                                        ; implicit-def: $vgpr36_vgpr37
	s_wait_alu 0xfffe
	s_cbranch_vccnz .LBB7_34
; %bb.33:                               ;   in Loop: Header=BB7_20 Depth=2
	flat_load_b64 v[47:48], v[34:35] offset:-8
	flat_load_b128 v[36:39], v[24:25] offset:-8
	s_mov_b32 s50, 0
	s_wait_loadcnt_dscnt 0x0
	v_fma_f64 v[36:37], v[47:48], v[36:37], v[0:1]
	v_fma_f64 v[38:39], v[47:48], v[38:39], v[2:3]
.LBB7_34:                               ;   in Loop: Header=BB7_20 Depth=2
	s_and_not1_b32 vcc_lo, exec_lo, s50
	s_wait_alu 0xfffe
	s_cbranch_vccnz .LBB7_36
; %bb.35:                               ;   in Loop: Header=BB7_20 Depth=2
	flat_load_b128 v[36:39], v[24:25] offset:-8
	flat_load_b128 v[47:50], v[34:35] offset:-8
	s_wait_loadcnt_dscnt 0x0
	v_mul_f64_e32 v[34:35], v[38:39], v[49:50]
	v_mul_f64_e32 v[49:50], v[36:37], v[49:50]
	s_delay_alu instid0(VALU_DEP_2) | instskip(NEXT) | instid1(VALU_DEP_2)
	v_fma_f64 v[34:35], v[36:37], v[47:48], -v[34:35]
	v_fma_f64 v[38:39], v[38:39], v[47:48], v[49:50]
	s_delay_alu instid0(VALU_DEP_2) | instskip(NEXT) | instid1(VALU_DEP_2)
	v_add_f64_e32 v[36:37], v[0:1], v[34:35]
	v_add_f64_e32 v[38:39], v[2:3], v[38:39]
.LBB7_36:                               ;   in Loop: Header=BB7_20 Depth=2
	s_delay_alu instid0(VALU_DEP_1) | instskip(NEXT) | instid1(VALU_DEP_3)
	v_dual_mov_b32 v2, v38 :: v_dual_mov_b32 v3, v39
	v_dual_mov_b32 v0, v36 :: v_dual_mov_b32 v1, v37
.LBB7_37:                               ;   in Loop: Header=BB7_20 Depth=2
	s_or_b32 exec_lo, exec_lo, s49
.LBB7_38:                               ;   in Loop: Header=BB7_20 Depth=2
	s_wait_alu 0xfffe
	s_and_not1_saveexec_b32 s5, s5
	s_cbranch_execz .LBB7_40
; %bb.39:                               ;   in Loop: Header=BB7_20 Depth=2
	v_lshlrev_b64_e32 v[34:35], 4, v[20:21]
	s_delay_alu instid0(VALU_DEP_1) | instskip(SKIP_1) | instid1(VALU_DEP_2)
	v_add_co_u32 v20, vcc_lo, v32, v34
	s_wait_alu 0xfffd
	v_add_co_ci_u32_e64 v29, null, v33, v35, vcc_lo
	s_delay_alu instid0(VALU_DEP_2) | instskip(SKIP_1) | instid1(VALU_DEP_2)
	v_add_co_u32 v38, vcc_lo, v4, v20
	s_wait_alu 0xfffd
	v_add_co_ci_u32_e64 v39, null, v5, v29, vcc_lo
	flat_load_b128 v[34:37], v[24:25] offset:-8
	flat_load_b128 v[47:50], v[38:39] offset:-8
	s_wait_loadcnt_dscnt 0x0
	v_mul_f64_e32 v[38:39], v[36:37], v[49:50]
	v_mul_f64_e32 v[49:50], v[34:35], v[49:50]
	s_delay_alu instid0(VALU_DEP_2) | instskip(NEXT) | instid1(VALU_DEP_2)
	v_fma_f64 v[34:35], v[34:35], v[47:48], -v[38:39]
	v_fma_f64 v[36:37], v[36:37], v[47:48], v[49:50]
	s_delay_alu instid0(VALU_DEP_2) | instskip(NEXT) | instid1(VALU_DEP_2)
	v_add_f64_e32 v[0:1], v[0:1], v[34:35]
	v_add_f64_e32 v[2:3], v[2:3], v[36:37]
.LBB7_40:                               ;   in Loop: Header=BB7_20 Depth=2
	s_wait_alu 0xfffe
	s_or_b32 exec_lo, exec_lo, s5
.LBB7_41:                               ;   in Loop: Header=BB7_20 Depth=2
	s_and_not1_saveexec_b32 s48, s48
	s_cbranch_execz .LBB7_18
; %bb.42:                               ;   in Loop: Header=BB7_20 Depth=2
	v_add_nc_u32_e32 v20, v9, v46
	s_delay_alu instid0(VALU_DEP_1) | instskip(SKIP_2) | instid1(SALU_CYCLE_1)
	v_cmp_ge_i32_e32 vcc_lo, s30, v20
	v_cmp_lt_i32_e64 s5, -1, v20
	s_and_b32 s49, vcc_lo, s5
	s_and_saveexec_b32 s5, s49
	s_cbranch_execz .LBB7_17
; %bb.43:                               ;   in Loop: Header=BB7_20 Depth=2
	v_lshlrev_b64_e32 v[34:35], 4, v[20:21]
	s_delay_alu instid0(VALU_DEP_1) | instskip(SKIP_1) | instid1(VALU_DEP_2)
	v_add_co_u32 v38, vcc_lo, v44, v34
	s_wait_alu 0xfffd
	v_add_co_ci_u32_e64 v39, null, v45, v35, vcc_lo
	flat_load_b128 v[34:37], v[24:25] offset:-8
	flat_load_b128 v[47:50], v[38:39]
	s_wait_loadcnt_dscnt 0x0
	v_mul_f64_e32 v[38:39], v[49:50], v[36:37]
	v_mul_f64_e32 v[49:50], v[49:50], v[34:35]
	s_delay_alu instid0(VALU_DEP_2) | instskip(NEXT) | instid1(VALU_DEP_2)
	v_fma_f64 v[34:35], v[47:48], v[34:35], v[38:39]
	v_fma_f64 v[36:37], v[47:48], v[36:37], -v[49:50]
	s_delay_alu instid0(VALU_DEP_2) | instskip(NEXT) | instid1(VALU_DEP_2)
	v_add_f64_e32 v[0:1], v[0:1], v[34:35]
	v_add_f64_e32 v[2:3], v[2:3], v[36:37]
	s_branch .LBB7_17
.LBB7_44:                               ;   in Loop: Header=BB7_8 Depth=1
	s_or_b32 exec_lo, exec_lo, s46
.LBB7_45:                               ;   in Loop: Header=BB7_8 Depth=1
	s_delay_alu instid0(SALU_CYCLE_1)
	s_or_b32 exec_lo, exec_lo, s45
	ds_store_b128 v41, v[0:3]
	s_wait_loadcnt_dscnt 0x0
	s_barrier_signal -1
	s_barrier_wait -1
	global_inv scope:SCOPE_SE
.LBB7_46:                               ;   in Loop: Header=BB7_8 Depth=1
	s_and_saveexec_b32 s5, s3
	s_cbranch_execz .LBB7_7
; %bb.47:                               ;   in Loop: Header=BB7_8 Depth=1
	s_wait_loadcnt 0x0
	v_add_co_u32 v20, vcc_lo, v6, s22
	s_wait_alu 0xfffd
	v_add_co_ci_u32_e64 v24, null, s23, v7, vcc_lo
	s_and_b32 vcc_lo, exec_lo, s42
	s_wait_alu 0xfffe
	s_cbranch_vccz .LBB7_53
; %bb.48:                               ;   in Loop: Header=BB7_8 Depth=1
	s_mov_b32 s41, 0
	s_mov_b32 s40, 0
                                        ; implicit-def: $vgpr2_vgpr3
	s_and_saveexec_b32 s45, s4
	s_delay_alu instid0(SALU_CYCLE_1)
	s_xor_b32 s45, exec_lo, s45
	s_cbranch_execz .LBB7_52
; %bb.49:                               ;   in Loop: Header=BB7_8 Depth=1
	v_mov_b32_e32 v2, 0
	v_dual_mov_b32 v3, 0 :: v_dual_mov_b32 v0, 0
	v_mov_b32_e32 v1, 0
	s_and_not1_b32 vcc_lo, exec_lo, s43
	s_wait_alu 0xfffe
	s_cbranch_vccnz .LBB7_51
; %bb.50:                               ;   in Loop: Header=BB7_8 Depth=1
	v_lshlrev_b64_e32 v[0:1], 4, v[10:11]
	s_delay_alu instid0(VALU_DEP_1) | instskip(SKIP_1) | instid1(VALU_DEP_2)
	v_add_co_u32 v0, vcc_lo, v20, v0
	s_wait_alu 0xfffd
	v_add_co_ci_u32_e64 v1, null, v24, v1, vcc_lo
	flat_load_b128 v[2:5], v[0:1]
	s_wait_loadcnt_dscnt 0x0
	v_mul_f64_e32 v[0:1], s[18:19], v[4:5]
	v_mul_f64_e32 v[4:5], s[16:17], v[4:5]
	s_delay_alu instid0(VALU_DEP_2) | instskip(NEXT) | instid1(VALU_DEP_2)
	v_fma_f64 v[0:1], s[16:17], v[2:3], -v[0:1]
	v_fma_f64 v[2:3], s[18:19], v[2:3], v[4:5]
.LBB7_51:                               ;   in Loop: Header=BB7_8 Depth=1
	s_mov_b32 s40, exec_lo
.LBB7_52:                               ;   in Loop: Header=BB7_8 Depth=1
	s_or_b32 exec_lo, exec_lo, s45
	s_wait_alu 0xfffe
	s_and_b32 vcc_lo, exec_lo, s41
	s_wait_alu 0xfffe
	s_cbranch_vccnz .LBB7_54
	s_branch .LBB7_59
.LBB7_53:                               ;   in Loop: Header=BB7_8 Depth=1
	s_mov_b32 s40, 0
                                        ; implicit-def: $vgpr2_vgpr3
	s_cbranch_execz .LBB7_59
.LBB7_54:                               ;   in Loop: Header=BB7_8 Depth=1
	ds_load_b128 v[0:3], v41
	ds_load_b128 v[4:7], v41 offset:1024
	s_wait_dscnt 0x0
	v_add_f64_e32 v[25:26], v[0:1], v[4:5]
	v_add_f64_e32 v[27:28], v[2:3], v[6:7]
	ds_load_b128 v[0:3], v41 offset:2048
	ds_load_b128 v[4:7], v41 offset:3072
	s_wait_dscnt 0x1
	v_add_f64_e32 v[0:1], v[25:26], v[0:1]
	v_add_f64_e32 v[2:3], v[27:28], v[2:3]
	s_wait_dscnt 0x0
	s_delay_alu instid0(VALU_DEP_2) | instskip(NEXT) | instid1(VALU_DEP_2)
	v_add_f64_e32 v[25:26], v[0:1], v[4:5]
	v_add_f64_e32 v[27:28], v[2:3], v[6:7]
	ds_load_b128 v[0:3], v41 offset:4096
	ds_load_b128 v[4:7], v41 offset:5120
	s_wait_dscnt 0x1
	v_add_f64_e32 v[0:1], v[25:26], v[0:1]
	v_add_f64_e32 v[2:3], v[27:28], v[2:3]
	s_wait_dscnt 0x0
	s_delay_alu instid0(VALU_DEP_2) | instskip(NEXT) | instid1(VALU_DEP_2)
	;; [unrolled: 9-line block ×7, first 2 shown]
	v_add_f64_e32 v[4:5], v[0:1], v[4:5]
	v_add_f64_e32 v[6:7], v[2:3], v[6:7]
                                        ; implicit-def: $vgpr2_vgpr3
	ds_store_b128 v41, v[4:7]
	s_and_saveexec_b32 s41, s4
	s_cbranch_execz .LBB7_58
; %bb.55:                               ;   in Loop: Header=BB7_8 Depth=1
	v_mul_f64_e32 v[0:1], s[10:11], v[6:7]
	v_mul_f64_e32 v[2:3], s[8:9], v[6:7]
	s_and_not1_b32 vcc_lo, exec_lo, s43
	s_delay_alu instid0(VALU_DEP_2) | instskip(NEXT) | instid1(VALU_DEP_2)
	v_fma_f64 v[0:1], s[8:9], v[4:5], -v[0:1]
	v_fma_f64 v[2:3], s[10:11], v[4:5], v[2:3]
	s_wait_alu 0xfffe
	s_cbranch_vccnz .LBB7_57
; %bb.56:                               ;   in Loop: Header=BB7_8 Depth=1
	v_lshlrev_b64_e32 v[4:5], 4, v[10:11]
	s_delay_alu instid0(VALU_DEP_1) | instskip(SKIP_1) | instid1(VALU_DEP_2)
	v_add_co_u32 v4, vcc_lo, v20, v4
	s_wait_alu 0xfffd
	v_add_co_ci_u32_e64 v5, null, v24, v5, vcc_lo
	flat_load_b128 v[4:7], v[4:5]
	s_wait_loadcnt_dscnt 0x0
	v_mul_f64_e32 v[25:26], s[18:19], v[6:7]
	v_mul_f64_e32 v[6:7], s[16:17], v[6:7]
	s_delay_alu instid0(VALU_DEP_2) | instskip(NEXT) | instid1(VALU_DEP_2)
	v_fma_f64 v[25:26], s[16:17], v[4:5], -v[25:26]
	v_fma_f64 v[4:5], s[18:19], v[4:5], v[6:7]
	s_delay_alu instid0(VALU_DEP_2) | instskip(NEXT) | instid1(VALU_DEP_2)
	v_add_f64_e32 v[0:1], v[0:1], v[25:26]
	v_add_f64_e32 v[2:3], v[2:3], v[4:5]
.LBB7_57:                               ;   in Loop: Header=BB7_8 Depth=1
	s_or_b32 s40, s40, exec_lo
.LBB7_58:                               ;   in Loop: Header=BB7_8 Depth=1
	s_wait_alu 0xfffe
	s_or_b32 exec_lo, exec_lo, s41
.LBB7_59:                               ;   in Loop: Header=BB7_8 Depth=1
	s_wait_alu 0xfffe
	s_and_b32 exec_lo, exec_lo, s40
	s_cbranch_execz .LBB7_7
; %bb.60:                               ;   in Loop: Header=BB7_8 Depth=1
	v_lshlrev_b64_e32 v[4:5], 4, v[10:11]
	s_delay_alu instid0(VALU_DEP_1) | instskip(SKIP_1) | instid1(VALU_DEP_2)
	v_add_co_u32 v4, vcc_lo, v20, v4
	s_wait_alu 0xfffd
	v_add_co_ci_u32_e64 v5, null, v24, v5, vcc_lo
	flat_store_b128 v[4:5], v[0:3]
	s_branch .LBB7_7
.LBB7_61:
	s_endpgm
	.section	.rodata,"a",@progbits
	.p2align	6, 0x0
	.amdhsa_kernel _ZL20rocblas_hbmvn_kernelILi64ELi16E19rocblas_complex_numIdEPKPKS1_PKPS1_EvbiiT1_T2_lllSA_lllS9_T3_llli
		.amdhsa_group_segment_fixed_size 16384
		.amdhsa_private_segment_fixed_size 0
		.amdhsa_kernarg_size 408
		.amdhsa_user_sgpr_count 2
		.amdhsa_user_sgpr_dispatch_ptr 0
		.amdhsa_user_sgpr_queue_ptr 0
		.amdhsa_user_sgpr_kernarg_segment_ptr 1
		.amdhsa_user_sgpr_dispatch_id 0
		.amdhsa_user_sgpr_private_segment_size 0
		.amdhsa_wavefront_size32 1
		.amdhsa_uses_dynamic_stack 0
		.amdhsa_enable_private_segment 0
		.amdhsa_system_sgpr_workgroup_id_x 1
		.amdhsa_system_sgpr_workgroup_id_y 0
		.amdhsa_system_sgpr_workgroup_id_z 1
		.amdhsa_system_sgpr_workgroup_info 0
		.amdhsa_system_vgpr_workitem_id 1
		.amdhsa_next_free_vgpr 51
		.amdhsa_next_free_sgpr 52
		.amdhsa_reserve_vcc 1
		.amdhsa_float_round_mode_32 0
		.amdhsa_float_round_mode_16_64 0
		.amdhsa_float_denorm_mode_32 3
		.amdhsa_float_denorm_mode_16_64 3
		.amdhsa_fp16_overflow 0
		.amdhsa_workgroup_processor_mode 1
		.amdhsa_memory_ordered 1
		.amdhsa_forward_progress 1
		.amdhsa_inst_pref_size 23
		.amdhsa_round_robin_scheduling 0
		.amdhsa_exception_fp_ieee_invalid_op 0
		.amdhsa_exception_fp_denorm_src 0
		.amdhsa_exception_fp_ieee_div_zero 0
		.amdhsa_exception_fp_ieee_overflow 0
		.amdhsa_exception_fp_ieee_underflow 0
		.amdhsa_exception_fp_ieee_inexact 0
		.amdhsa_exception_int_div_zero 0
	.end_amdhsa_kernel
	.section	.text._ZL20rocblas_hbmvn_kernelILi64ELi16E19rocblas_complex_numIdEPKPKS1_PKPS1_EvbiiT1_T2_lllSA_lllS9_T3_llli,"axG",@progbits,_ZL20rocblas_hbmvn_kernelILi64ELi16E19rocblas_complex_numIdEPKPKS1_PKPS1_EvbiiT1_T2_lllSA_lllS9_T3_llli,comdat
.Lfunc_end7:
	.size	_ZL20rocblas_hbmvn_kernelILi64ELi16E19rocblas_complex_numIdEPKPKS1_PKPS1_EvbiiT1_T2_lllSA_lllS9_T3_llli, .Lfunc_end7-_ZL20rocblas_hbmvn_kernelILi64ELi16E19rocblas_complex_numIdEPKPKS1_PKPS1_EvbiiT1_T2_lllSA_lllS9_T3_llli
                                        ; -- End function
	.set _ZL20rocblas_hbmvn_kernelILi64ELi16E19rocblas_complex_numIdEPKPKS1_PKPS1_EvbiiT1_T2_lllSA_lllS9_T3_llli.num_vgpr, 51
	.set _ZL20rocblas_hbmvn_kernelILi64ELi16E19rocblas_complex_numIdEPKPKS1_PKPS1_EvbiiT1_T2_lllSA_lllS9_T3_llli.num_agpr, 0
	.set _ZL20rocblas_hbmvn_kernelILi64ELi16E19rocblas_complex_numIdEPKPKS1_PKPS1_EvbiiT1_T2_lllSA_lllS9_T3_llli.numbered_sgpr, 52
	.set _ZL20rocblas_hbmvn_kernelILi64ELi16E19rocblas_complex_numIdEPKPKS1_PKPS1_EvbiiT1_T2_lllSA_lllS9_T3_llli.num_named_barrier, 0
	.set _ZL20rocblas_hbmvn_kernelILi64ELi16E19rocblas_complex_numIdEPKPKS1_PKPS1_EvbiiT1_T2_lllSA_lllS9_T3_llli.private_seg_size, 0
	.set _ZL20rocblas_hbmvn_kernelILi64ELi16E19rocblas_complex_numIdEPKPKS1_PKPS1_EvbiiT1_T2_lllSA_lllS9_T3_llli.uses_vcc, 1
	.set _ZL20rocblas_hbmvn_kernelILi64ELi16E19rocblas_complex_numIdEPKPKS1_PKPS1_EvbiiT1_T2_lllSA_lllS9_T3_llli.uses_flat_scratch, 0
	.set _ZL20rocblas_hbmvn_kernelILi64ELi16E19rocblas_complex_numIdEPKPKS1_PKPS1_EvbiiT1_T2_lllSA_lllS9_T3_llli.has_dyn_sized_stack, 0
	.set _ZL20rocblas_hbmvn_kernelILi64ELi16E19rocblas_complex_numIdEPKPKS1_PKPS1_EvbiiT1_T2_lllSA_lllS9_T3_llli.has_recursion, 0
	.set _ZL20rocblas_hbmvn_kernelILi64ELi16E19rocblas_complex_numIdEPKPKS1_PKPS1_EvbiiT1_T2_lllSA_lllS9_T3_llli.has_indirect_call, 0
	.section	.AMDGPU.csdata,"",@progbits
; Kernel info:
; codeLenInByte = 2828
; TotalNumSgprs: 54
; NumVgprs: 51
; ScratchSize: 0
; MemoryBound: 1
; FloatMode: 240
; IeeeMode: 1
; LDSByteSize: 16384 bytes/workgroup (compile time only)
; SGPRBlocks: 0
; VGPRBlocks: 6
; NumSGPRsForWavesPerEU: 54
; NumVGPRsForWavesPerEU: 51
; Occupancy: 16
; WaveLimiterHint : 1
; COMPUTE_PGM_RSRC2:SCRATCH_EN: 0
; COMPUTE_PGM_RSRC2:USER_SGPR: 2
; COMPUTE_PGM_RSRC2:TRAP_HANDLER: 0
; COMPUTE_PGM_RSRC2:TGID_X_EN: 1
; COMPUTE_PGM_RSRC2:TGID_Y_EN: 0
; COMPUTE_PGM_RSRC2:TGID_Z_EN: 1
; COMPUTE_PGM_RSRC2:TIDIG_COMP_CNT: 1
	.section	.AMDGPU.gpr_maximums,"",@progbits
	.set amdgpu.max_num_vgpr, 0
	.set amdgpu.max_num_agpr, 0
	.set amdgpu.max_num_sgpr, 0
	.section	.AMDGPU.csdata,"",@progbits
	.type	__hip_cuid_dc913a450ab442ad,@object ; @__hip_cuid_dc913a450ab442ad
	.section	.bss,"aw",@nobits
	.globl	__hip_cuid_dc913a450ab442ad
__hip_cuid_dc913a450ab442ad:
	.byte	0                               ; 0x0
	.size	__hip_cuid_dc913a450ab442ad, 1

	.ident	"AMD clang version 22.0.0git (https://github.com/RadeonOpenCompute/llvm-project roc-7.2.4 26084 f58b06dce1f9c15707c5f808fd002e18c2accf7e)"
	.section	".note.GNU-stack","",@progbits
	.addrsig
	.addrsig_sym __hip_cuid_dc913a450ab442ad
	.amdgpu_metadata
---
amdhsa.kernels:
  - .args:
      - .offset:         0
        .size:           1
        .value_kind:     by_value
      - .offset:         4
        .size:           4
        .value_kind:     by_value
      - .offset:         8
        .size:           4
        .value_kind:     by_value
      - .address_space:  global
        .offset:         16
        .size:           8
        .value_kind:     global_buffer
      - .address_space:  global
        .offset:         24
        .size:           8
        .value_kind:     global_buffer
      - .offset:         32
        .size:           8
        .value_kind:     by_value
      - .offset:         40
        .size:           8
        .value_kind:     by_value
      - .offset:         48
        .size:           8
        .value_kind:     by_value
      - .address_space:  global
        .offset:         56
        .size:           8
        .value_kind:     global_buffer
      - .offset:         64
        .size:           8
        .value_kind:     by_value
      - .offset:         72
        .size:           8
        .value_kind:     by_value
      - .offset:         80
        .size:           8
        .value_kind:     by_value
      - .address_space:  global
        .offset:         88
        .size:           8
        .value_kind:     global_buffer
      - .address_space:  global
        .offset:         96
        .size:           8
        .value_kind:     global_buffer
      - .offset:         104
        .size:           8
        .value_kind:     by_value
      - .offset:         112
        .size:           8
        .value_kind:     by_value
      - .offset:         120
        .size:           8
        .value_kind:     by_value
      - .offset:         128
        .size:           4
        .value_kind:     by_value
      - .offset:         136
        .size:           4
        .value_kind:     hidden_block_count_x
      - .offset:         140
        .size:           4
        .value_kind:     hidden_block_count_y
      - .offset:         144
        .size:           4
        .value_kind:     hidden_block_count_z
      - .offset:         148
        .size:           2
        .value_kind:     hidden_group_size_x
      - .offset:         150
        .size:           2
        .value_kind:     hidden_group_size_y
      - .offset:         152
        .size:           2
        .value_kind:     hidden_group_size_z
      - .offset:         154
        .size:           2
        .value_kind:     hidden_remainder_x
      - .offset:         156
        .size:           2
        .value_kind:     hidden_remainder_y
      - .offset:         158
        .size:           2
        .value_kind:     hidden_remainder_z
      - .offset:         176
        .size:           8
        .value_kind:     hidden_global_offset_x
      - .offset:         184
        .size:           8
        .value_kind:     hidden_global_offset_y
      - .offset:         192
        .size:           8
        .value_kind:     hidden_global_offset_z
      - .offset:         200
        .size:           2
        .value_kind:     hidden_grid_dims
    .group_segment_fixed_size: 8192
    .kernarg_segment_align: 8
    .kernarg_segment_size: 392
    .language:       OpenCL C
    .language_version:
      - 2
      - 0
    .max_flat_workgroup_size: 1024
    .name:           _ZL20rocblas_hbmvn_kernelILi64ELi16EPK19rocblas_complex_numIfES3_PS1_EvbiiT1_T2_lllS6_lllS5_T3_llli
    .private_segment_fixed_size: 0
    .sgpr_count:     50
    .sgpr_spill_count: 0
    .symbol:         _ZL20rocblas_hbmvn_kernelILi64ELi16EPK19rocblas_complex_numIfES3_PS1_EvbiiT1_T2_lllS6_lllS5_T3_llli.kd
    .uniform_work_group_size: 1
    .uses_dynamic_stack: false
    .vgpr_count:     36
    .vgpr_spill_count: 0
    .wavefront_size: 32
    .workgroup_processor_mode: 1
  - .args:
      - .offset:         0
        .size:           1
        .value_kind:     by_value
      - .offset:         4
        .size:           4
        .value_kind:     by_value
      - .offset:         8
        .size:           4
        .value_kind:     by_value
      - .offset:         12
        .size:           8
        .value_kind:     by_value
      - .address_space:  global
        .offset:         24
        .size:           8
        .value_kind:     global_buffer
      - .offset:         32
        .size:           8
        .value_kind:     by_value
      - .offset:         40
        .size:           8
        .value_kind:     by_value
      - .offset:         48
        .size:           8
        .value_kind:     by_value
      - .address_space:  global
        .offset:         56
        .size:           8
        .value_kind:     global_buffer
      - .offset:         64
        .size:           8
        .value_kind:     by_value
      - .offset:         72
        .size:           8
        .value_kind:     by_value
      - .offset:         80
        .size:           8
        .value_kind:     by_value
      - .offset:         88
        .size:           8
        .value_kind:     by_value
      - .address_space:  global
        .offset:         96
        .size:           8
        .value_kind:     global_buffer
      - .offset:         104
        .size:           8
        .value_kind:     by_value
      - .offset:         112
        .size:           8
        .value_kind:     by_value
      - .offset:         120
        .size:           8
        .value_kind:     by_value
      - .offset:         128
        .size:           4
        .value_kind:     by_value
      - .offset:         136
        .size:           4
        .value_kind:     hidden_block_count_x
      - .offset:         140
        .size:           4
        .value_kind:     hidden_block_count_y
      - .offset:         144
        .size:           4
        .value_kind:     hidden_block_count_z
      - .offset:         148
        .size:           2
        .value_kind:     hidden_group_size_x
      - .offset:         150
        .size:           2
        .value_kind:     hidden_group_size_y
      - .offset:         152
        .size:           2
        .value_kind:     hidden_group_size_z
      - .offset:         154
        .size:           2
        .value_kind:     hidden_remainder_x
      - .offset:         156
        .size:           2
        .value_kind:     hidden_remainder_y
      - .offset:         158
        .size:           2
        .value_kind:     hidden_remainder_z
      - .offset:         176
        .size:           8
        .value_kind:     hidden_global_offset_x
      - .offset:         184
        .size:           8
        .value_kind:     hidden_global_offset_y
      - .offset:         192
        .size:           8
        .value_kind:     hidden_global_offset_z
      - .offset:         200
        .size:           2
        .value_kind:     hidden_grid_dims
    .group_segment_fixed_size: 8192
    .kernarg_segment_align: 8
    .kernarg_segment_size: 392
    .language:       OpenCL C
    .language_version:
      - 2
      - 0
    .max_flat_workgroup_size: 1024
    .name:           _ZL20rocblas_hbmvn_kernelILi64ELi16E19rocblas_complex_numIfEPKS1_PS1_EvbiiT1_T2_lllS6_lllS5_T3_llli
    .private_segment_fixed_size: 0
    .sgpr_count:     50
    .sgpr_spill_count: 0
    .symbol:         _ZL20rocblas_hbmvn_kernelILi64ELi16E19rocblas_complex_numIfEPKS1_PS1_EvbiiT1_T2_lllS6_lllS5_T3_llli.kd
    .uniform_work_group_size: 1
    .uses_dynamic_stack: false
    .vgpr_count:     36
    .vgpr_spill_count: 0
    .wavefront_size: 32
    .workgroup_processor_mode: 1
  - .args:
      - .offset:         0
        .size:           1
        .value_kind:     by_value
      - .offset:         4
        .size:           4
        .value_kind:     by_value
      - .offset:         8
        .size:           4
        .value_kind:     by_value
      - .address_space:  global
        .offset:         16
        .size:           8
        .value_kind:     global_buffer
      - .address_space:  global
        .offset:         24
        .size:           8
        .value_kind:     global_buffer
      - .offset:         32
        .size:           8
        .value_kind:     by_value
      - .offset:         40
        .size:           8
        .value_kind:     by_value
      - .offset:         48
        .size:           8
        .value_kind:     by_value
      - .address_space:  global
        .offset:         56
        .size:           8
        .value_kind:     global_buffer
      - .offset:         64
        .size:           8
        .value_kind:     by_value
      - .offset:         72
        .size:           8
        .value_kind:     by_value
      - .offset:         80
        .size:           8
        .value_kind:     by_value
      - .address_space:  global
        .offset:         88
        .size:           8
        .value_kind:     global_buffer
      - .address_space:  global
        .offset:         96
        .size:           8
        .value_kind:     global_buffer
      - .offset:         104
        .size:           8
        .value_kind:     by_value
      - .offset:         112
        .size:           8
        .value_kind:     by_value
      - .offset:         120
        .size:           8
        .value_kind:     by_value
      - .offset:         128
        .size:           4
        .value_kind:     by_value
      - .offset:         136
        .size:           4
        .value_kind:     hidden_block_count_x
      - .offset:         140
        .size:           4
        .value_kind:     hidden_block_count_y
      - .offset:         144
        .size:           4
        .value_kind:     hidden_block_count_z
      - .offset:         148
        .size:           2
        .value_kind:     hidden_group_size_x
      - .offset:         150
        .size:           2
        .value_kind:     hidden_group_size_y
      - .offset:         152
        .size:           2
        .value_kind:     hidden_group_size_z
      - .offset:         154
        .size:           2
        .value_kind:     hidden_remainder_x
      - .offset:         156
        .size:           2
        .value_kind:     hidden_remainder_y
      - .offset:         158
        .size:           2
        .value_kind:     hidden_remainder_z
      - .offset:         176
        .size:           8
        .value_kind:     hidden_global_offset_x
      - .offset:         184
        .size:           8
        .value_kind:     hidden_global_offset_y
      - .offset:         192
        .size:           8
        .value_kind:     hidden_global_offset_z
      - .offset:         200
        .size:           2
        .value_kind:     hidden_grid_dims
    .group_segment_fixed_size: 16384
    .kernarg_segment_align: 8
    .kernarg_segment_size: 392
    .language:       OpenCL C
    .language_version:
      - 2
      - 0
    .max_flat_workgroup_size: 1024
    .name:           _ZL20rocblas_hbmvn_kernelILi64ELi16EPK19rocblas_complex_numIdES3_PS1_EvbiiT1_T2_lllS6_lllS5_T3_llli
    .private_segment_fixed_size: 0
    .sgpr_count:     56
    .sgpr_spill_count: 0
    .symbol:         _ZL20rocblas_hbmvn_kernelILi64ELi16EPK19rocblas_complex_numIdES3_PS1_EvbiiT1_T2_lllS6_lllS5_T3_llli.kd
    .uniform_work_group_size: 1
    .uses_dynamic_stack: false
    .vgpr_count:     47
    .vgpr_spill_count: 0
    .wavefront_size: 32
    .workgroup_processor_mode: 1
  - .args:
      - .offset:         0
        .size:           1
        .value_kind:     by_value
      - .offset:         4
        .size:           4
        .value_kind:     by_value
      - .offset:         8
        .size:           4
        .value_kind:     by_value
      - .offset:         16
        .size:           16
        .value_kind:     by_value
      - .address_space:  global
        .offset:         32
        .size:           8
        .value_kind:     global_buffer
      - .offset:         40
        .size:           8
        .value_kind:     by_value
      - .offset:         48
        .size:           8
        .value_kind:     by_value
      - .offset:         56
        .size:           8
        .value_kind:     by_value
      - .address_space:  global
        .offset:         64
        .size:           8
        .value_kind:     global_buffer
      - .offset:         72
        .size:           8
        .value_kind:     by_value
      - .offset:         80
        .size:           8
        .value_kind:     by_value
      - .offset:         88
        .size:           8
        .value_kind:     by_value
      - .offset:         96
        .size:           16
        .value_kind:     by_value
      - .address_space:  global
        .offset:         112
        .size:           8
        .value_kind:     global_buffer
      - .offset:         120
        .size:           8
        .value_kind:     by_value
      - .offset:         128
        .size:           8
        .value_kind:     by_value
      - .offset:         136
        .size:           8
        .value_kind:     by_value
      - .offset:         144
        .size:           4
        .value_kind:     by_value
      - .offset:         152
        .size:           4
        .value_kind:     hidden_block_count_x
      - .offset:         156
        .size:           4
        .value_kind:     hidden_block_count_y
      - .offset:         160
        .size:           4
        .value_kind:     hidden_block_count_z
      - .offset:         164
        .size:           2
        .value_kind:     hidden_group_size_x
      - .offset:         166
        .size:           2
        .value_kind:     hidden_group_size_y
      - .offset:         168
        .size:           2
        .value_kind:     hidden_group_size_z
      - .offset:         170
        .size:           2
        .value_kind:     hidden_remainder_x
      - .offset:         172
        .size:           2
        .value_kind:     hidden_remainder_y
      - .offset:         174
        .size:           2
        .value_kind:     hidden_remainder_z
      - .offset:         192
        .size:           8
        .value_kind:     hidden_global_offset_x
      - .offset:         200
        .size:           8
        .value_kind:     hidden_global_offset_y
      - .offset:         208
        .size:           8
        .value_kind:     hidden_global_offset_z
      - .offset:         216
        .size:           2
        .value_kind:     hidden_grid_dims
    .group_segment_fixed_size: 16384
    .kernarg_segment_align: 8
    .kernarg_segment_size: 408
    .language:       OpenCL C
    .language_version:
      - 2
      - 0
    .max_flat_workgroup_size: 1024
    .name:           _ZL20rocblas_hbmvn_kernelILi64ELi16E19rocblas_complex_numIdEPKS1_PS1_EvbiiT1_T2_lllS6_lllS5_T3_llli
    .private_segment_fixed_size: 0
    .sgpr_count:     56
    .sgpr_spill_count: 0
    .symbol:         _ZL20rocblas_hbmvn_kernelILi64ELi16E19rocblas_complex_numIdEPKS1_PS1_EvbiiT1_T2_lllS6_lllS5_T3_llli.kd
    .uniform_work_group_size: 1
    .uses_dynamic_stack: false
    .vgpr_count:     47
    .vgpr_spill_count: 0
    .wavefront_size: 32
    .workgroup_processor_mode: 1
  - .args:
      - .offset:         0
        .size:           1
        .value_kind:     by_value
      - .offset:         4
        .size:           4
        .value_kind:     by_value
      - .offset:         8
        .size:           4
        .value_kind:     by_value
      - .address_space:  global
        .offset:         16
        .size:           8
        .value_kind:     global_buffer
      - .address_space:  global
        .offset:         24
        .size:           8
        .value_kind:     global_buffer
      - .offset:         32
        .size:           8
        .value_kind:     by_value
      - .offset:         40
        .size:           8
        .value_kind:     by_value
      - .offset:         48
        .size:           8
        .value_kind:     by_value
      - .address_space:  global
        .offset:         56
        .size:           8
        .value_kind:     global_buffer
      - .offset:         64
        .size:           8
        .value_kind:     by_value
      - .offset:         72
        .size:           8
        .value_kind:     by_value
      - .offset:         80
        .size:           8
        .value_kind:     by_value
      - .address_space:  global
        .offset:         88
        .size:           8
        .value_kind:     global_buffer
      - .address_space:  global
        .offset:         96
        .size:           8
        .value_kind:     global_buffer
      - .offset:         104
        .size:           8
        .value_kind:     by_value
      - .offset:         112
        .size:           8
        .value_kind:     by_value
      - .offset:         120
        .size:           8
        .value_kind:     by_value
      - .offset:         128
        .size:           4
        .value_kind:     by_value
      - .offset:         136
        .size:           4
        .value_kind:     hidden_block_count_x
      - .offset:         140
        .size:           4
        .value_kind:     hidden_block_count_y
      - .offset:         144
        .size:           4
        .value_kind:     hidden_block_count_z
      - .offset:         148
        .size:           2
        .value_kind:     hidden_group_size_x
      - .offset:         150
        .size:           2
        .value_kind:     hidden_group_size_y
      - .offset:         152
        .size:           2
        .value_kind:     hidden_group_size_z
      - .offset:         154
        .size:           2
        .value_kind:     hidden_remainder_x
      - .offset:         156
        .size:           2
        .value_kind:     hidden_remainder_y
      - .offset:         158
        .size:           2
        .value_kind:     hidden_remainder_z
      - .offset:         176
        .size:           8
        .value_kind:     hidden_global_offset_x
      - .offset:         184
        .size:           8
        .value_kind:     hidden_global_offset_y
      - .offset:         192
        .size:           8
        .value_kind:     hidden_global_offset_z
      - .offset:         200
        .size:           2
        .value_kind:     hidden_grid_dims
    .group_segment_fixed_size: 8192
    .kernarg_segment_align: 8
    .kernarg_segment_size: 392
    .language:       OpenCL C
    .language_version:
      - 2
      - 0
    .max_flat_workgroup_size: 1024
    .name:           _ZL20rocblas_hbmvn_kernelILi64ELi16EPK19rocblas_complex_numIfEPKS3_PKPS1_EvbiiT1_T2_lllSA_lllS9_T3_llli
    .private_segment_fixed_size: 0
    .sgpr_count:     48
    .sgpr_spill_count: 0
    .symbol:         _ZL20rocblas_hbmvn_kernelILi64ELi16EPK19rocblas_complex_numIfEPKS3_PKPS1_EvbiiT1_T2_lllSA_lllS9_T3_llli.kd
    .uniform_work_group_size: 1
    .uses_dynamic_stack: false
    .vgpr_count:     40
    .vgpr_spill_count: 0
    .wavefront_size: 32
    .workgroup_processor_mode: 1
  - .args:
      - .offset:         0
        .size:           1
        .value_kind:     by_value
      - .offset:         4
        .size:           4
        .value_kind:     by_value
      - .offset:         8
        .size:           4
        .value_kind:     by_value
      - .offset:         12
        .size:           8
        .value_kind:     by_value
      - .address_space:  global
        .offset:         24
        .size:           8
        .value_kind:     global_buffer
      - .offset:         32
        .size:           8
        .value_kind:     by_value
      - .offset:         40
        .size:           8
        .value_kind:     by_value
      - .offset:         48
        .size:           8
        .value_kind:     by_value
      - .address_space:  global
        .offset:         56
        .size:           8
        .value_kind:     global_buffer
      - .offset:         64
        .size:           8
        .value_kind:     by_value
      - .offset:         72
        .size:           8
        .value_kind:     by_value
      - .offset:         80
        .size:           8
        .value_kind:     by_value
      - .offset:         88
        .size:           8
        .value_kind:     by_value
      - .address_space:  global
        .offset:         96
        .size:           8
        .value_kind:     global_buffer
      - .offset:         104
        .size:           8
        .value_kind:     by_value
      - .offset:         112
        .size:           8
        .value_kind:     by_value
      - .offset:         120
        .size:           8
        .value_kind:     by_value
      - .offset:         128
        .size:           4
        .value_kind:     by_value
      - .offset:         136
        .size:           4
        .value_kind:     hidden_block_count_x
      - .offset:         140
        .size:           4
        .value_kind:     hidden_block_count_y
      - .offset:         144
        .size:           4
        .value_kind:     hidden_block_count_z
      - .offset:         148
        .size:           2
        .value_kind:     hidden_group_size_x
      - .offset:         150
        .size:           2
        .value_kind:     hidden_group_size_y
      - .offset:         152
        .size:           2
        .value_kind:     hidden_group_size_z
      - .offset:         154
        .size:           2
        .value_kind:     hidden_remainder_x
      - .offset:         156
        .size:           2
        .value_kind:     hidden_remainder_y
      - .offset:         158
        .size:           2
        .value_kind:     hidden_remainder_z
      - .offset:         176
        .size:           8
        .value_kind:     hidden_global_offset_x
      - .offset:         184
        .size:           8
        .value_kind:     hidden_global_offset_y
      - .offset:         192
        .size:           8
        .value_kind:     hidden_global_offset_z
      - .offset:         200
        .size:           2
        .value_kind:     hidden_grid_dims
    .group_segment_fixed_size: 8192
    .kernarg_segment_align: 8
    .kernarg_segment_size: 392
    .language:       OpenCL C
    .language_version:
      - 2
      - 0
    .max_flat_workgroup_size: 1024
    .name:           _ZL20rocblas_hbmvn_kernelILi64ELi16E19rocblas_complex_numIfEPKPKS1_PKPS1_EvbiiT1_T2_lllSA_lllS9_T3_llli
    .private_segment_fixed_size: 0
    .sgpr_count:     48
    .sgpr_spill_count: 0
    .symbol:         _ZL20rocblas_hbmvn_kernelILi64ELi16E19rocblas_complex_numIfEPKPKS1_PKPS1_EvbiiT1_T2_lllSA_lllS9_T3_llli.kd
    .uniform_work_group_size: 1
    .uses_dynamic_stack: false
    .vgpr_count:     40
    .vgpr_spill_count: 0
    .wavefront_size: 32
    .workgroup_processor_mode: 1
  - .args:
      - .offset:         0
        .size:           1
        .value_kind:     by_value
      - .offset:         4
        .size:           4
        .value_kind:     by_value
      - .offset:         8
        .size:           4
        .value_kind:     by_value
      - .address_space:  global
        .offset:         16
        .size:           8
        .value_kind:     global_buffer
      - .address_space:  global
        .offset:         24
        .size:           8
        .value_kind:     global_buffer
      - .offset:         32
        .size:           8
        .value_kind:     by_value
      - .offset:         40
        .size:           8
        .value_kind:     by_value
      - .offset:         48
        .size:           8
        .value_kind:     by_value
      - .address_space:  global
        .offset:         56
        .size:           8
        .value_kind:     global_buffer
      - .offset:         64
        .size:           8
        .value_kind:     by_value
      - .offset:         72
        .size:           8
        .value_kind:     by_value
      - .offset:         80
        .size:           8
        .value_kind:     by_value
      - .address_space:  global
        .offset:         88
        .size:           8
        .value_kind:     global_buffer
      - .address_space:  global
        .offset:         96
        .size:           8
        .value_kind:     global_buffer
      - .offset:         104
        .size:           8
        .value_kind:     by_value
      - .offset:         112
        .size:           8
        .value_kind:     by_value
      - .offset:         120
        .size:           8
        .value_kind:     by_value
      - .offset:         128
        .size:           4
        .value_kind:     by_value
      - .offset:         136
        .size:           4
        .value_kind:     hidden_block_count_x
      - .offset:         140
        .size:           4
        .value_kind:     hidden_block_count_y
      - .offset:         144
        .size:           4
        .value_kind:     hidden_block_count_z
      - .offset:         148
        .size:           2
        .value_kind:     hidden_group_size_x
      - .offset:         150
        .size:           2
        .value_kind:     hidden_group_size_y
      - .offset:         152
        .size:           2
        .value_kind:     hidden_group_size_z
      - .offset:         154
        .size:           2
        .value_kind:     hidden_remainder_x
      - .offset:         156
        .size:           2
        .value_kind:     hidden_remainder_y
      - .offset:         158
        .size:           2
        .value_kind:     hidden_remainder_z
      - .offset:         176
        .size:           8
        .value_kind:     hidden_global_offset_x
      - .offset:         184
        .size:           8
        .value_kind:     hidden_global_offset_y
      - .offset:         192
        .size:           8
        .value_kind:     hidden_global_offset_z
      - .offset:         200
        .size:           2
        .value_kind:     hidden_grid_dims
    .group_segment_fixed_size: 16384
    .kernarg_segment_align: 8
    .kernarg_segment_size: 392
    .language:       OpenCL C
    .language_version:
      - 2
      - 0
    .max_flat_workgroup_size: 1024
    .name:           _ZL20rocblas_hbmvn_kernelILi64ELi16EPK19rocblas_complex_numIdEPKS3_PKPS1_EvbiiT1_T2_lllSA_lllS9_T3_llli
    .private_segment_fixed_size: 0
    .sgpr_count:     54
    .sgpr_spill_count: 0
    .symbol:         _ZL20rocblas_hbmvn_kernelILi64ELi16EPK19rocblas_complex_numIdEPKS3_PKPS1_EvbiiT1_T2_lllSA_lllS9_T3_llli.kd
    .uniform_work_group_size: 1
    .uses_dynamic_stack: false
    .vgpr_count:     51
    .vgpr_spill_count: 0
    .wavefront_size: 32
    .workgroup_processor_mode: 1
  - .args:
      - .offset:         0
        .size:           1
        .value_kind:     by_value
      - .offset:         4
        .size:           4
        .value_kind:     by_value
      - .offset:         8
        .size:           4
        .value_kind:     by_value
      - .offset:         16
        .size:           16
        .value_kind:     by_value
      - .address_space:  global
        .offset:         32
        .size:           8
        .value_kind:     global_buffer
      - .offset:         40
        .size:           8
        .value_kind:     by_value
      - .offset:         48
        .size:           8
        .value_kind:     by_value
      - .offset:         56
        .size:           8
        .value_kind:     by_value
      - .address_space:  global
        .offset:         64
        .size:           8
        .value_kind:     global_buffer
      - .offset:         72
        .size:           8
        .value_kind:     by_value
      - .offset:         80
        .size:           8
        .value_kind:     by_value
      - .offset:         88
        .size:           8
        .value_kind:     by_value
      - .offset:         96
        .size:           16
        .value_kind:     by_value
      - .address_space:  global
        .offset:         112
        .size:           8
        .value_kind:     global_buffer
      - .offset:         120
        .size:           8
        .value_kind:     by_value
      - .offset:         128
        .size:           8
        .value_kind:     by_value
      - .offset:         136
        .size:           8
        .value_kind:     by_value
      - .offset:         144
        .size:           4
        .value_kind:     by_value
      - .offset:         152
        .size:           4
        .value_kind:     hidden_block_count_x
      - .offset:         156
        .size:           4
        .value_kind:     hidden_block_count_y
      - .offset:         160
        .size:           4
        .value_kind:     hidden_block_count_z
      - .offset:         164
        .size:           2
        .value_kind:     hidden_group_size_x
      - .offset:         166
        .size:           2
        .value_kind:     hidden_group_size_y
      - .offset:         168
        .size:           2
        .value_kind:     hidden_group_size_z
      - .offset:         170
        .size:           2
        .value_kind:     hidden_remainder_x
      - .offset:         172
        .size:           2
        .value_kind:     hidden_remainder_y
      - .offset:         174
        .size:           2
        .value_kind:     hidden_remainder_z
      - .offset:         192
        .size:           8
        .value_kind:     hidden_global_offset_x
      - .offset:         200
        .size:           8
        .value_kind:     hidden_global_offset_y
      - .offset:         208
        .size:           8
        .value_kind:     hidden_global_offset_z
      - .offset:         216
        .size:           2
        .value_kind:     hidden_grid_dims
    .group_segment_fixed_size: 16384
    .kernarg_segment_align: 8
    .kernarg_segment_size: 408
    .language:       OpenCL C
    .language_version:
      - 2
      - 0
    .max_flat_workgroup_size: 1024
    .name:           _ZL20rocblas_hbmvn_kernelILi64ELi16E19rocblas_complex_numIdEPKPKS1_PKPS1_EvbiiT1_T2_lllSA_lllS9_T3_llli
    .private_segment_fixed_size: 0
    .sgpr_count:     54
    .sgpr_spill_count: 0
    .symbol:         _ZL20rocblas_hbmvn_kernelILi64ELi16E19rocblas_complex_numIdEPKPKS1_PKPS1_EvbiiT1_T2_lllSA_lllS9_T3_llli.kd
    .uniform_work_group_size: 1
    .uses_dynamic_stack: false
    .vgpr_count:     51
    .vgpr_spill_count: 0
    .wavefront_size: 32
    .workgroup_processor_mode: 1
amdhsa.target:   amdgcn-amd-amdhsa--gfx1201
amdhsa.version:
  - 1
  - 2
...

	.end_amdgpu_metadata
